;; amdgpu-corpus repo=ROCm/rocFFT kind=compiled arch=gfx950 opt=O3
	.text
	.amdgcn_target "amdgcn-amd-amdhsa--gfx950"
	.amdhsa_code_object_version 6
	.protected	fft_rtc_back_len1352_factors_2_13_13_4_wgs_52_tpt_52_halfLds_sp_op_CI_CI_unitstride_sbrr_dirReg ; -- Begin function fft_rtc_back_len1352_factors_2_13_13_4_wgs_52_tpt_52_halfLds_sp_op_CI_CI_unitstride_sbrr_dirReg
	.globl	fft_rtc_back_len1352_factors_2_13_13_4_wgs_52_tpt_52_halfLds_sp_op_CI_CI_unitstride_sbrr_dirReg
	.p2align	8
	.type	fft_rtc_back_len1352_factors_2_13_13_4_wgs_52_tpt_52_halfLds_sp_op_CI_CI_unitstride_sbrr_dirReg,@function
fft_rtc_back_len1352_factors_2_13_13_4_wgs_52_tpt_52_halfLds_sp_op_CI_CI_unitstride_sbrr_dirReg: ; @fft_rtc_back_len1352_factors_2_13_13_4_wgs_52_tpt_52_halfLds_sp_op_CI_CI_unitstride_sbrr_dirReg
; %bb.0:
	s_load_dwordx4 s[8:11], s[0:1], 0x58
	s_load_dwordx4 s[4:7], s[0:1], 0x0
	;; [unrolled: 1-line block ×3, first 2 shown]
	v_mul_u32_u24_e32 v1, 0x4ed, v0
	v_add_u32_sdwa v6, s2, v1 dst_sel:DWORD dst_unused:UNUSED_PAD src0_sel:DWORD src1_sel:WORD_1
	v_mov_b32_e32 v4, 0
	s_waitcnt lgkmcnt(0)
	v_cmp_lt_u64_e64 s[2:3], s[6:7], 2
	v_mov_b32_e32 v7, v4
	s_and_b64 vcc, exec, s[2:3]
	v_mov_b64_e32 v[2:3], 0
	s_cbranch_vccnz .LBB0_8
; %bb.1:
	s_load_dwordx2 s[2:3], s[0:1], 0x10
	s_add_u32 s16, s14, 8
	s_addc_u32 s17, s15, 0
	s_add_u32 s18, s12, 8
	s_addc_u32 s19, s13, 0
	s_waitcnt lgkmcnt(0)
	s_add_u32 s20, s2, 8
	v_mov_b64_e32 v[2:3], 0
	s_addc_u32 s21, s3, 0
	s_mov_b64 s[22:23], 1
	v_mov_b64_e32 v[36:37], v[2:3]
.LBB0_2:                                ; =>This Inner Loop Header: Depth=1
	s_load_dwordx2 s[24:25], s[20:21], 0x0
                                        ; implicit-def: $vgpr38_vgpr39
	s_waitcnt lgkmcnt(0)
	v_or_b32_e32 v5, s25, v7
	v_cmp_ne_u64_e32 vcc, 0, v[4:5]
	s_and_saveexec_b64 s[2:3], vcc
	s_xor_b64 s[26:27], exec, s[2:3]
	s_cbranch_execz .LBB0_4
; %bb.3:                                ;   in Loop: Header=BB0_2 Depth=1
	v_cvt_f32_u32_e32 v1, s24
	v_cvt_f32_u32_e32 v5, s25
	s_sub_u32 s2, 0, s24
	s_subb_u32 s3, 0, s25
	v_fmac_f32_e32 v1, 0x4f800000, v5
	v_rcp_f32_e32 v1, v1
	s_nop 0
	v_mul_f32_e32 v1, 0x5f7ffffc, v1
	v_mul_f32_e32 v5, 0x2f800000, v1
	v_trunc_f32_e32 v5, v5
	v_fmac_f32_e32 v1, 0xcf800000, v5
	v_cvt_u32_f32_e32 v5, v5
	v_cvt_u32_f32_e32 v1, v1
	v_mul_lo_u32 v8, s2, v5
	v_mul_hi_u32 v10, s2, v1
	v_mul_lo_u32 v9, s3, v1
	v_add_u32_e32 v10, v10, v8
	v_mul_lo_u32 v12, s2, v1
	v_add_u32_e32 v13, v10, v9
	v_mul_hi_u32 v8, v1, v12
	v_mul_hi_u32 v11, v1, v13
	v_mul_lo_u32 v10, v1, v13
	v_mov_b32_e32 v9, v4
	v_lshl_add_u64 v[8:9], v[8:9], 0, v[10:11]
	v_mul_hi_u32 v11, v5, v12
	v_mul_lo_u32 v12, v5, v12
	v_add_co_u32_e32 v8, vcc, v8, v12
	v_mul_hi_u32 v10, v5, v13
	s_nop 0
	v_addc_co_u32_e32 v8, vcc, v9, v11, vcc
	v_mov_b32_e32 v9, v4
	s_nop 0
	v_addc_co_u32_e32 v11, vcc, 0, v10, vcc
	v_mul_lo_u32 v10, v5, v13
	v_lshl_add_u64 v[8:9], v[8:9], 0, v[10:11]
	v_add_co_u32_e32 v1, vcc, v1, v8
	v_mul_lo_u32 v10, s2, v1
	s_nop 0
	v_addc_co_u32_e32 v5, vcc, v5, v9, vcc
	v_mul_lo_u32 v8, s2, v5
	v_mul_hi_u32 v9, s2, v1
	v_add_u32_e32 v8, v9, v8
	v_mul_lo_u32 v9, s3, v1
	v_add_u32_e32 v12, v8, v9
	v_mul_hi_u32 v14, v5, v10
	v_mul_lo_u32 v15, v5, v10
	v_mul_hi_u32 v9, v1, v12
	v_mul_lo_u32 v8, v1, v12
	v_mul_hi_u32 v10, v1, v10
	v_mov_b32_e32 v11, v4
	v_lshl_add_u64 v[8:9], v[10:11], 0, v[8:9]
	v_add_co_u32_e32 v8, vcc, v8, v15
	v_mul_hi_u32 v13, v5, v12
	s_nop 0
	v_addc_co_u32_e32 v8, vcc, v9, v14, vcc
	v_mul_lo_u32 v10, v5, v12
	s_nop 0
	v_addc_co_u32_e32 v11, vcc, 0, v13, vcc
	v_mov_b32_e32 v9, v4
	v_lshl_add_u64 v[8:9], v[8:9], 0, v[10:11]
	v_add_co_u32_e32 v1, vcc, v1, v8
	v_mul_hi_u32 v10, v6, v1
	s_nop 0
	v_addc_co_u32_e32 v5, vcc, v5, v9, vcc
	v_mad_u64_u32 v[8:9], s[2:3], v6, v5, 0
	v_mov_b32_e32 v11, v4
	v_lshl_add_u64 v[8:9], v[10:11], 0, v[8:9]
	v_mad_u64_u32 v[12:13], s[2:3], v7, v1, 0
	v_add_co_u32_e32 v1, vcc, v8, v12
	v_mad_u64_u32 v[10:11], s[2:3], v7, v5, 0
	s_nop 0
	v_addc_co_u32_e32 v8, vcc, v9, v13, vcc
	v_mov_b32_e32 v9, v4
	s_nop 0
	v_addc_co_u32_e32 v11, vcc, 0, v11, vcc
	v_lshl_add_u64 v[8:9], v[8:9], 0, v[10:11]
	v_mul_lo_u32 v1, s25, v8
	v_mul_lo_u32 v5, s24, v9
	v_mad_u64_u32 v[10:11], s[2:3], s24, v8, 0
	v_add3_u32 v1, v11, v5, v1
	v_sub_u32_e32 v5, v7, v1
	v_mov_b32_e32 v11, s25
	v_sub_co_u32_e32 v14, vcc, v6, v10
	v_lshl_add_u64 v[12:13], v[8:9], 0, 1
	s_nop 0
	v_subb_co_u32_e64 v5, s[2:3], v5, v11, vcc
	v_subrev_co_u32_e64 v10, s[2:3], s24, v14
	v_subb_co_u32_e32 v1, vcc, v7, v1, vcc
	s_nop 0
	v_subbrev_co_u32_e64 v5, s[2:3], 0, v5, s[2:3]
	v_cmp_le_u32_e64 s[2:3], s25, v5
	v_cmp_le_u32_e32 vcc, s25, v1
	s_nop 0
	v_cndmask_b32_e64 v11, 0, -1, s[2:3]
	v_cmp_le_u32_e64 s[2:3], s24, v10
	s_nop 1
	v_cndmask_b32_e64 v10, 0, -1, s[2:3]
	v_cmp_eq_u32_e64 s[2:3], s25, v5
	s_nop 1
	v_cndmask_b32_e64 v5, v11, v10, s[2:3]
	v_lshl_add_u64 v[10:11], v[8:9], 0, 2
	v_cmp_ne_u32_e64 s[2:3], 0, v5
	s_nop 1
	v_cndmask_b32_e64 v5, v13, v11, s[2:3]
	v_cndmask_b32_e64 v11, 0, -1, vcc
	v_cmp_le_u32_e32 vcc, s24, v14
	s_nop 1
	v_cndmask_b32_e64 v13, 0, -1, vcc
	v_cmp_eq_u32_e32 vcc, s25, v1
	s_nop 1
	v_cndmask_b32_e32 v1, v11, v13, vcc
	v_cmp_ne_u32_e32 vcc, 0, v1
	v_cndmask_b32_e64 v1, v12, v10, s[2:3]
	s_nop 0
	v_cndmask_b32_e32 v39, v9, v5, vcc
	v_cndmask_b32_e32 v38, v8, v1, vcc
.LBB0_4:                                ;   in Loop: Header=BB0_2 Depth=1
	s_andn2_saveexec_b64 s[2:3], s[26:27]
	s_cbranch_execz .LBB0_6
; %bb.5:                                ;   in Loop: Header=BB0_2 Depth=1
	v_cvt_f32_u32_e32 v1, s24
	s_sub_i32 s26, 0, s24
	v_mov_b32_e32 v39, v4
	v_rcp_iflag_f32_e32 v1, v1
	s_nop 0
	v_mul_f32_e32 v1, 0x4f7ffffe, v1
	v_cvt_u32_f32_e32 v1, v1
	v_mul_lo_u32 v5, s26, v1
	v_mul_hi_u32 v5, v1, v5
	v_add_u32_e32 v1, v1, v5
	v_mul_hi_u32 v1, v6, v1
	v_mul_lo_u32 v5, v1, s24
	v_sub_u32_e32 v5, v6, v5
	v_add_u32_e32 v8, 1, v1
	v_subrev_u32_e32 v9, s24, v5
	v_cmp_le_u32_e32 vcc, s24, v5
	s_nop 1
	v_cndmask_b32_e32 v5, v5, v9, vcc
	v_cndmask_b32_e32 v1, v1, v8, vcc
	v_add_u32_e32 v8, 1, v1
	v_cmp_le_u32_e32 vcc, s24, v5
	s_nop 1
	v_cndmask_b32_e32 v38, v1, v8, vcc
.LBB0_6:                                ;   in Loop: Header=BB0_2 Depth=1
	s_or_b64 exec, exec, s[2:3]
	v_mad_u64_u32 v[8:9], s[2:3], v38, s24, 0
	s_load_dwordx2 s[2:3], s[18:19], 0x0
	v_mul_lo_u32 v1, v39, s24
	v_mul_lo_u32 v5, v38, s25
	s_load_dwordx2 s[24:25], s[16:17], 0x0
	s_add_u32 s22, s22, 1
	v_add3_u32 v1, v9, v5, v1
	v_sub_co_u32_e32 v5, vcc, v6, v8
	s_addc_u32 s23, s23, 0
	s_nop 0
	v_subb_co_u32_e32 v1, vcc, v7, v1, vcc
	s_add_u32 s16, s16, 8
	s_waitcnt lgkmcnt(0)
	v_mul_lo_u32 v6, s2, v1
	v_mul_lo_u32 v7, s3, v5
	v_mad_u64_u32 v[2:3], s[2:3], s2, v5, v[2:3]
	s_addc_u32 s17, s17, 0
	v_add3_u32 v3, v7, v3, v6
	v_mul_lo_u32 v1, s24, v1
	v_mul_lo_u32 v6, s25, v5
	v_mad_u64_u32 v[36:37], s[2:3], s24, v5, v[36:37]
	s_add_u32 s18, s18, 8
	v_add3_u32 v37, v6, v37, v1
	s_addc_u32 s19, s19, 0
	v_mov_b64_e32 v[6:7], s[6:7]
	s_add_u32 s20, s20, 8
	v_cmp_ge_u64_e32 vcc, s[22:23], v[6:7]
	s_addc_u32 s21, s21, 0
	s_cbranch_vccnz .LBB0_9
; %bb.7:                                ;   in Loop: Header=BB0_2 Depth=1
	v_mov_b64_e32 v[6:7], v[38:39]
	s_branch .LBB0_2
.LBB0_8:
	v_mov_b64_e32 v[36:37], v[2:3]
	v_mov_b64_e32 v[38:39], v[6:7]
.LBB0_9:
	s_load_dwordx2 s[0:1], s[0:1], 0x28
	s_lshl_b64 s[16:17], s[6:7], 3
	s_add_u32 s2, s14, s16
	s_addc_u32 s3, s15, s17
                                        ; implicit-def: $sgpr14_sgpr15
                                        ; implicit-def: $vgpr88
	s_waitcnt lgkmcnt(0)
	v_cmp_gt_u64_e32 vcc, s[0:1], v[38:39]
	v_cmp_le_u64_e64 s[0:1], s[0:1], v[38:39]
	s_and_saveexec_b64 s[6:7], s[0:1]
	s_xor_b64 s[0:1], exec, s[6:7]
; %bb.10:
	s_mov_b32 s6, 0x4ec4ec5
	v_mul_hi_u32 v1, v0, s6
	v_mul_u32_u24_e32 v1, 52, v1
	v_sub_u32_e32 v88, v0, v1
	s_mov_b64 s[14:15], 0
                                        ; implicit-def: $vgpr0
                                        ; implicit-def: $vgpr2_vgpr3
; %bb.11:
	s_or_saveexec_b64 s[6:7], s[0:1]
	v_mov_b64_e32 v[8:9], s[14:15]
	v_mov_b64_e32 v[10:11], s[14:15]
	;; [unrolled: 1-line block ×13, first 2 shown]
                                        ; implicit-def: $vgpr58
                                        ; implicit-def: $vgpr32
                                        ; implicit-def: $vgpr30
                                        ; implicit-def: $vgpr40
                                        ; implicit-def: $vgpr34
                                        ; implicit-def: $vgpr52
                                        ; implicit-def: $vgpr46
                                        ; implicit-def: $vgpr44
                                        ; implicit-def: $vgpr42
                                        ; implicit-def: $vgpr48
                                        ; implicit-def: $vgpr54
                                        ; implicit-def: $vgpr50
                                        ; implicit-def: $vgpr56
	s_xor_b64 exec, exec, s[6:7]
	s_cbranch_execz .LBB0_13
; %bb.12:
	s_add_u32 s0, s12, s16
	s_addc_u32 s1, s13, s17
	s_load_dwordx2 s[0:1], s[0:1], 0x0
	s_mov_b32 s12, 0x4ec4ec5
	s_waitcnt lgkmcnt(0)
	v_mul_lo_u32 v1, s1, v38
	v_mul_lo_u32 v6, s0, v39
	v_mad_u64_u32 v[4:5], s[0:1], s0, v38, 0
	v_add3_u32 v5, v5, v6, v1
	v_mul_hi_u32 v1, v0, s12
	v_mul_u32_u24_e32 v1, 52, v1
	v_sub_u32_e32 v88, v0, v1
	v_lshl_add_u64 v[0:1], v[4:5], 3, s[8:9]
	v_lshl_add_u64 v[0:1], v[2:3], 3, v[0:1]
	v_lshlrev_b32_e32 v2, 3, v88
	v_mov_b32_e32 v3, 0
	v_lshl_add_u64 v[60:61], v[0:1], 0, v[2:3]
	s_movk_i32 s0, 0x1000
	v_add_co_u32_e64 v62, s[0:1], s0, v60
	v_or_b32_e32 v2, 0x1a00, v2
	s_nop 0
	v_addc_co_u32_e64 v63, s[0:1], 0, v61, s[0:1]
	v_lshl_add_u64 v[0:1], v[0:1], 0, v[2:3]
	s_movk_i32 s0, 0x2000
	global_load_dwordx2 v[32:33], v[62:63], off offset:1728
	global_load_dwordx2 v[30:31], v[62:63], off offset:2144
	global_load_dwordx2 v[8:9], v[60:61], off
	global_load_dwordx2 v[10:11], v[60:61], off offset:416
	global_load_dwordx2 v[6:7], v[60:61], off offset:832
	;; [unrolled: 1-line block ×5, first 2 shown]
	global_load_dwordx2 v[56:57], v[0:1], off
	global_load_dwordx2 v[34:35], v[62:63], off offset:3808
	global_load_dwordx2 v[20:21], v[60:61], off offset:1664
	global_load_dwordx2 v[16:17], v[60:61], off offset:2080
	global_load_dwordx2 v[14:15], v[60:61], off offset:2496
	global_load_dwordx2 v[12:13], v[60:61], off offset:2912
	v_add_co_u32_e64 v0, s[0:1], s0, v60
	s_nop 1
	v_addc_co_u32_e64 v1, s[0:1], 0, v61, s[0:1]
	global_load_dwordx2 v[52:53], v[0:1], off offset:128
	global_load_dwordx2 v[46:47], v[0:1], off offset:544
	;; [unrolled: 1-line block ×12, first 2 shown]
.LBB0_13:
	s_or_b64 exec, exec, s[6:7]
	s_waitcnt vmcnt(3)
	v_sub_f32_e32 v3, v9, v59
	v_sub_f32_e32 v59, v11, v33
	;; [unrolled: 1-line block ×5, first 2 shown]
	v_fma_f32 v2, v9, 2.0, -v3
	v_sub_f32_e32 v9, v10, v32
	v_fma_f32 v58, v11, 2.0, -v59
	v_sub_f32_e32 v11, v6, v30
	;; [unrolled: 2-line block ×4, first 2 shown]
	v_sub_f32_e32 v63, v21, v41
	v_sub_f32_e32 v65, v17, v51
	;; [unrolled: 1-line block ×7, first 2 shown]
	s_waitcnt vmcnt(1)
	v_sub_f32_e32 v91, v19, v55
	v_add_u32_e32 v68, 52, v88
	v_fma_f32 v0, v8, 2.0, -v1
	v_fma_f32 v8, v10, 2.0, -v9
	;; [unrolled: 1-line block ×6, first 2 shown]
	v_sub_f32_e32 v21, v16, v50
	v_fma_f32 v64, v17, 2.0, -v65
	v_sub_f32_e32 v17, v14, v34
	v_fma_f32 v66, v15, 2.0, -v67
	;; [unrolled: 2-line block ×7, first 2 shown]
	s_waitcnt vmcnt(0)
	v_sub_f32_e32 v19, v28, v48
	v_lshl_add_u32 v85, v88, 3, 0
	v_lshl_add_u32 v89, v68, 3, 0
	v_add_u32_e32 v82, 0x104, v88
	v_add_u32_e32 v83, 0x138, v88
	v_lshl_add_u32 v84, v88, 2, 0
	s_load_dwordx2 s[2:3], s[2:3], 0x0
	v_fma_f32 v20, v16, 2.0, -v21
	v_fma_f32 v16, v14, 2.0, -v17
	;; [unrolled: 1-line block ×7, first 2 shown]
	v_sub_f32_e32 v93, v29, v49
	v_fma_f32 v18, v28, 2.0, -v19
	ds_write_b64 v89, v[8:9]
	ds_write2_b64 v85, v[0:1], v[10:11] offset1:104
	ds_write2_b64 v85, v[6:7], v[4:5] offset0:156 offset1:208
	v_lshl_add_u32 v0, v82, 3, 0
	v_lshl_add_u32 v1, v83, 3, 0
	v_add_u32_e32 v4, 0x800, v85
	v_add_u32_e32 v5, 0xc00, v85
	v_add_u32_e32 v6, 0x1000, v85
	v_add_u32_e32 v76, 0x200, v84
	v_add_u32_e32 v80, 0x400, v84
	v_add_u32_e32 v77, 0x800, v84
	v_add_u32_e32 v69, 0xa00, v84
	v_add_u32_e32 v78, 0xc00, v84
	v_add_u32_e32 v79, 0x1000, v84
	v_add_u32_e32 v81, 0x1200, v84
	v_fma_f32 v92, v29, 2.0, -v93
	ds_write_b64 v0, v[20:21]
	ds_write_b64 v1, v[16:17]
	ds_write2_b64 v4, v[14:15], v[12:13] offset0:108 offset1:160
	ds_write2_b64 v5, v[26:27], v[24:25] offset0:84 offset1:136
	;; [unrolled: 1-line block ×3, first 2 shown]
	s_waitcnt lgkmcnt(0)
	; wave barrier
	s_waitcnt lgkmcnt(0)
	ds_read2_b32 v[24:25], v84 offset1:52
	ds_read2_b32 v[54:55], v84 offset0:104 offset1:156
	ds_read2_b32 v[52:53], v76 offset0:80 offset1:132
	;; [unrolled: 1-line block ×12, first 2 shown]
	s_waitcnt lgkmcnt(0)
	; wave barrier
	s_waitcnt lgkmcnt(0)
	ds_write_b64 v89, v[58:59]
	ds_write2_b64 v85, v[2:3], v[60:61] offset1:104
	ds_write2_b64 v85, v[56:57], v[62:63] offset0:156 offset1:208
	ds_write_b64 v0, v[64:65]
	ds_write_b64 v1, v[66:67]
	ds_write2_b64 v4, v[70:71], v[72:73] offset0:108 offset1:160
	ds_write2_b64 v5, v[74:75], v[86:87] offset0:84 offset1:136
	;; [unrolled: 1-line block ×3, first 2 shown]
	v_and_b32_e32 v62, 1, v88
	v_mul_u32_u24_e32 v0, 12, v62
	v_lshlrev_b32_e32 v26, 3, v0
	s_waitcnt lgkmcnt(0)
	; wave barrier
	s_waitcnt lgkmcnt(0)
	global_load_dwordx4 v[20:23], v26, s[4:5]
	global_load_dwordx4 v[8:11], v26, s[4:5] offset:16
	global_load_dwordx4 v[4:7], v26, s[4:5] offset:32
	global_load_dwordx4 v[0:3], v26, s[4:5] offset:48
	global_load_dwordx4 v[16:19], v26, s[4:5] offset:64
	global_load_dwordx4 v[12:15], v26, s[4:5] offset:80
	ds_read2_b32 v[26:27], v84 offset1:52
	ds_read2_b32 v[70:71], v84 offset0:104 offset1:156
	ds_read2_b32 v[72:73], v76 offset0:80 offset1:132
	;; [unrolled: 1-line block ×12, first 2 shown]
	s_mov_b32 s8, 0x3f62ad3f
	s_mov_b32 s6, 0x3df6dbef
	;; [unrolled: 1-line block ×6, first 2 shown]
	s_waitcnt lgkmcnt(0)
	; wave barrier
	s_waitcnt lgkmcnt(0)
	v_cmp_gt_u32_e64 s[0:1], 26, v88
	s_mov_b32 s24, 0xbeedf032
	s_mov_b32 s25, 0xbf52af12
	;; [unrolled: 1-line block ×12, first 2 shown]
	s_waitcnt vmcnt(5)
	v_mul_f32_e32 v89, v72, v23
	s_waitcnt vmcnt(4)
	v_mul_f32_e32 v65, v86, v11
	v_fmac_f32_e32 v65, v48, v10
	v_mul_f32_e32 v48, v48, v11
	v_fma_f32 v66, v86, v10, -v48
	s_waitcnt vmcnt(1)
	v_mul_f32_e32 v86, v60, v19
	v_fmac_f32_e32 v86, v32, v18
	v_mul_f32_e32 v32, v32, v19
	v_fma_f32 v32, v60, v18, -v32
	s_waitcnt vmcnt(0)
	v_mul_f32_e32 v60, v58, v13
	v_fmac_f32_e32 v60, v30, v12
	v_mul_f32_e32 v30, v30, v13
	v_mul_f32_e32 v85, v70, v21
	v_fmac_f32_e32 v89, v52, v22
	v_mul_f32_e32 v52, v52, v23
	v_mul_f32_e32 v100, v74, v9
	v_fma_f32 v30, v58, v12, -v30
	v_mul_f32_e32 v58, v56, v15
	v_fmac_f32_e32 v85, v54, v20
	v_mul_f32_e32 v54, v54, v21
	v_fma_f32 v72, v72, v22, -v52
	v_fmac_f32_e32 v100, v50, v8
	v_mul_f32_e32 v50, v50, v9
	v_fmac_f32_e32 v58, v28, v14
	v_mul_f32_e32 v28, v28, v15
	v_mul_f32_e32 v52, v71, v21
	;; [unrolled: 1-line block ×3, first 2 shown]
	v_fma_f32 v70, v70, v20, -v54
	v_fma_f32 v74, v74, v8, -v50
	v_mul_f32_e32 v50, v90, v5
	v_fma_f32 v56, v56, v14, -v28
	v_fmac_f32_e32 v52, v55, v20
	v_fma_f32 v54, v71, v20, -v21
	v_mul_f32_e32 v28, v73, v23
	v_mul_f32_e32 v20, v53, v23
	;; [unrolled: 1-line block ×4, first 2 shown]
	v_fmac_f32_e32 v50, v46, v4
	v_mul_f32_e32 v46, v46, v5
	v_fmac_f32_e32 v28, v53, v22
	v_fma_f32 v23, v73, v22, -v20
	v_fmac_f32_e32 v21, v51, v8
	v_fma_f32 v22, v75, v8, -v9
	v_mul_f32_e32 v8, v49, v11
	v_fma_f32 v63, v90, v4, -v46
	v_mul_f32_e32 v46, v92, v7
	v_mul_f32_e32 v20, v87, v11
	v_fma_f32 v11, v87, v10, -v8
	v_mul_f32_e32 v8, v91, v5
	v_mul_f32_e32 v5, v47, v5
	v_fmac_f32_e32 v46, v44, v6
	v_mul_f32_e32 v44, v44, v7
	v_mul_f32_e32 v48, v94, v1
	v_fmac_f32_e32 v8, v47, v4
	v_fma_f32 v9, v91, v4, -v5
	v_mul_f32_e32 v4, v93, v7
	v_mul_f32_e32 v5, v45, v7
	v_fma_f32 v44, v92, v6, -v44
	v_fmac_f32_e32 v48, v42, v0
	v_mul_f32_e32 v42, v42, v1
	v_mul_f32_e32 v64, v96, v3
	v_fmac_f32_e32 v4, v45, v6
	v_fma_f32 v5, v93, v6, -v5
	v_mul_f32_e32 v6, v95, v1
	v_mul_f32_e32 v1, v43, v1
	v_fma_f32 v42, v94, v0, -v42
	v_fmac_f32_e32 v64, v40, v2
	v_mul_f32_e32 v40, v40, v3
	v_mul_f32_e32 v67, v98, v17
	v_fmac_f32_e32 v20, v49, v10
	v_fmac_f32_e32 v6, v43, v0
	v_fma_f32 v7, v95, v0, -v1
	v_mul_f32_e32 v10, v97, v3
	v_mul_f32_e32 v0, v41, v3
	v_fma_f32 v40, v96, v2, -v40
	v_fmac_f32_e32 v67, v34, v16
	v_mul_f32_e32 v34, v34, v17
	v_fmac_f32_e32 v10, v41, v2
	v_fma_f32 v2, v97, v2, -v0
	v_mul_f32_e32 v3, v99, v17
	v_mul_f32_e32 v0, v35, v17
	v_fma_f32 v34, v98, v16, -v34
	v_fmac_f32_e32 v3, v35, v16
	v_fma_f32 v16, v99, v16, -v0
	v_mul_f32_e32 v17, v61, v19
	v_mul_f32_e32 v0, v33, v19
	v_fmac_f32_e32 v17, v33, v18
	v_fma_f32 v18, v61, v18, -v0
	v_mul_f32_e32 v19, v59, v13
	v_mul_f32_e32 v0, v31, v13
	v_fmac_f32_e32 v19, v31, v12
	v_fma_f32 v12, v59, v12, -v0
	v_mul_f32_e32 v0, v29, v15
	v_fma_f32 v53, v57, v14, -v0
	v_add_f32_e32 v0, v24, v85
	v_add_f32_e32 v1, v26, v70
	;; [unrolled: 1-line block ×18, first 2 shown]
	v_mul_f32_e32 v51, v57, v15
	v_add_f32_e32 v0, v0, v86
	v_add_f32_e32 v1, v1, v32
	v_fmac_f32_e32 v51, v29, v14
	v_add_f32_e32 v0, v0, v60
	v_add_f32_e32 v13, v1, v30
	v_sub_f32_e32 v29, v70, v56
	v_add_f32_e32 v1, v0, v58
	v_add_f32_e32 v0, v13, v56
	;; [unrolled: 1-line block ×4, first 2 shown]
	v_mul_f32_e32 v31, 0xbeedf032, v29
	v_mul_f32_e32 v43, 0xbf52af12, v29
	;; [unrolled: 1-line block ×6, first 2 shown]
	v_sub_f32_e32 v15, v85, v58
	v_fmamk_f32 v33, v13, 0x3f62ad3f, v31
	v_mul_f32_e32 v35, 0x3f62ad3f, v14
	v_fma_f32 v31, v13, s8, -v31
	v_fmamk_f32 v45, v13, 0x3f116cb1, v43
	v_mul_f32_e32 v47, 0x3f116cb1, v14
	v_fma_f32 v43, v13, s9, -v43
	;; [unrolled: 3-line block ×6, first 2 shown]
	v_sub_f32_e32 v29, v72, v30
	v_add_f32_e32 v33, v24, v33
	v_fmamk_f32 v41, v15, 0x3eedf032, v35
	v_add_f32_e32 v31, v24, v31
	v_fmac_f32_e32 v35, 0xbeedf032, v15
	v_add_f32_e32 v45, v24, v45
	v_fmamk_f32 v49, v15, 0x3f52af12, v47
	v_add_f32_e32 v43, v24, v43
	v_fmac_f32_e32 v47, 0xbf52af12, v15
	;; [unrolled: 4-line block ×6, first 2 shown]
	v_add_f32_e32 v15, v89, v60
	v_add_f32_e32 v24, v72, v30
	v_mul_f32_e32 v30, 0xbf52af12, v29
	v_add_f32_e32 v41, v26, v41
	v_add_f32_e32 v35, v26, v35
	;; [unrolled: 1-line block ×12, first 2 shown]
	v_sub_f32_e32 v26, v89, v60
	v_fmamk_f32 v60, v15, 0x3f116cb1, v30
	v_add_f32_e32 v33, v60, v33
	v_mul_f32_e32 v60, 0x3f116cb1, v24
	v_fmamk_f32 v72, v26, 0x3f52af12, v60
	v_fma_f32 v30, v15, s9, -v30
	v_fmac_f32_e32 v60, 0xbf52af12, v26
	v_add_f32_e32 v30, v30, v31
	v_add_f32_e32 v31, v60, v35
	v_mul_f32_e32 v35, 0xbf6f5d39, v29
	v_fmamk_f32 v60, v15, 0xbeb58ec6, v35
	v_add_f32_e32 v45, v60, v45
	v_mul_f32_e32 v60, 0xbeb58ec6, v24
	v_add_f32_e32 v41, v72, v41
	v_fmamk_f32 v72, v26, 0x3f6f5d39, v60
	v_fma_f32 v35, v15, s13, -v35
	v_fmac_f32_e32 v60, 0xbf6f5d39, v26
	v_add_f32_e32 v35, v35, v43
	v_add_f32_e32 v43, v60, v47
	v_mul_f32_e32 v47, 0xbe750f2a, v29
	v_fmamk_f32 v60, v15, 0xbf788fa5, v47
	v_add_f32_e32 v56, v60, v56
	v_mul_f32_e32 v60, 0xbf788fa5, v24
	v_add_f32_e32 v49, v72, v49
	;; [unrolled: 10-line block ×3, first 2 shown]
	v_fmamk_f32 v72, v26, 0xbf29c268, v61
	v_fma_f32 v57, v15, s15, -v57
	v_fmac_f32_e32 v61, 0x3f29c268, v26
	v_add_f32_e32 v57, v57, v59
	v_add_f32_e32 v59, v61, v70
	v_mul_f32_e32 v61, 0x3f7e222b, v29
	v_add_f32_e32 v71, v72, v71
	v_fmamk_f32 v70, v15, 0x3df6dbef, v61
	v_mul_f32_e32 v72, 0x3df6dbef, v24
	v_add_f32_e32 v70, v70, v75
	v_fmamk_f32 v75, v26, 0xbf7e222b, v72
	v_fma_f32 v61, v15, s6, -v61
	v_fmac_f32_e32 v72, 0x3f7e222b, v26
	v_mul_f32_e32 v29, 0x3eedf032, v29
	v_mul_f32_e32 v24, 0x3f62ad3f, v24
	v_add_f32_e32 v61, v61, v73
	v_add_f32_e32 v72, v72, v85
	v_fmamk_f32 v73, v15, 0x3f62ad3f, v29
	v_fmamk_f32 v85, v26, 0xbeedf032, v24
	v_fma_f32 v15, v15, s8, -v29
	v_fmac_f32_e32 v24, 0x3eedf032, v26
	v_sub_f32_e32 v29, v74, v32
	v_add_f32_e32 v13, v15, v13
	v_add_f32_e32 v14, v24, v14
	;; [unrolled: 1-line block ×4, first 2 shown]
	v_mul_f32_e32 v32, 0xbf7e222b, v29
	v_fmamk_f32 v74, v15, 0x3df6dbef, v32
	v_sub_f32_e32 v26, v100, v86
	v_add_f32_e32 v33, v74, v33
	v_mul_f32_e32 v74, 0x3df6dbef, v24
	v_fma_f32 v32, v15, s6, -v32
	v_fmamk_f32 v86, v26, 0x3f7e222b, v74
	v_add_f32_e32 v30, v32, v30
	v_fmac_f32_e32 v74, 0xbf7e222b, v26
	v_mul_f32_e32 v32, 0xbe750f2a, v29
	v_add_f32_e32 v31, v74, v31
	v_fmamk_f32 v74, v15, 0xbf788fa5, v32
	v_add_f32_e32 v45, v74, v45
	v_mul_f32_e32 v74, 0xbf788fa5, v24
	v_add_f32_e32 v41, v86, v41
	v_fmamk_f32 v86, v26, 0x3e750f2a, v74
	v_fma_f32 v32, v15, s7, -v32
	v_fmac_f32_e32 v74, 0xbe750f2a, v26
	v_add_f32_e32 v32, v32, v35
	v_add_f32_e32 v35, v74, v43
	v_mul_f32_e32 v43, 0x3f6f5d39, v29
	v_fmamk_f32 v74, v15, 0xbeb58ec6, v43
	v_add_f32_e32 v56, v74, v56
	v_mul_f32_e32 v74, 0xbeb58ec6, v24
	v_add_f32_e32 v49, v86, v49
	v_fmamk_f32 v86, v26, 0xbf6f5d39, v74
	v_fma_f32 v43, v15, s13, -v43
	v_fmac_f32_e32 v74, 0x3f6f5d39, v26
	v_add_f32_e32 v43, v43, v47
	v_add_f32_e32 v47, v74, v55
	v_mul_f32_e32 v55, 0x3eedf032, v29
	;; [unrolled: 10-line block ×3, first 2 shown]
	v_fmamk_f32 v74, v15, 0x3f116cb1, v59
	v_add_f32_e32 v70, v74, v70
	v_mul_f32_e32 v74, 0x3f116cb1, v24
	v_add_f32_e32 v71, v86, v71
	v_fmamk_f32 v86, v26, 0x3f52af12, v74
	v_fma_f32 v59, v15, s9, -v59
	v_fmac_f32_e32 v74, 0xbf52af12, v26
	v_mul_f32_e32 v29, 0xbf29c268, v29
	v_add_f32_e32 v73, v73, v90
	v_add_f32_e32 v59, v59, v61
	;; [unrolled: 1-line block ×3, first 2 shown]
	v_fmamk_f32 v72, v15, 0xbf3f9e67, v29
	v_mul_f32_e32 v24, 0xbf3f9e67, v24
	v_add_f32_e32 v72, v72, v73
	v_fmamk_f32 v73, v26, 0x3f29c268, v24
	v_fma_f32 v15, v15, s15, -v29
	v_fmac_f32_e32 v24, 0xbf29c268, v26
	v_sub_f32_e32 v29, v66, v34
	v_add_f32_e32 v13, v15, v13
	v_add_f32_e32 v14, v24, v14
	;; [unrolled: 1-line block ×4, first 2 shown]
	v_mul_f32_e32 v34, 0xbf6f5d39, v29
	v_sub_f32_e32 v26, v65, v67
	v_fmamk_f32 v65, v15, 0xbeb58ec6, v34
	v_add_f32_e32 v33, v65, v33
	v_mul_f32_e32 v65, 0xbeb58ec6, v24
	v_fma_f32 v34, v15, s13, -v34
	v_fmamk_f32 v66, v26, 0x3f6f5d39, v65
	v_add_f32_e32 v30, v34, v30
	v_fmac_f32_e32 v65, 0xbf6f5d39, v26
	v_mul_f32_e32 v34, 0x3f29c268, v29
	v_add_f32_e32 v31, v65, v31
	v_fmamk_f32 v65, v15, 0xbf3f9e67, v34
	v_add_f32_e32 v45, v65, v45
	v_mul_f32_e32 v65, 0xbf3f9e67, v24
	v_add_f32_e32 v41, v66, v41
	v_fmamk_f32 v66, v26, 0xbf29c268, v65
	v_fma_f32 v34, v15, s15, -v34
	v_fmac_f32_e32 v65, 0x3f29c268, v26
	v_add_f32_e32 v32, v34, v32
	v_add_f32_e32 v34, v65, v35
	v_mul_f32_e32 v35, 0x3eedf032, v29
	v_fmamk_f32 v65, v15, 0x3f62ad3f, v35
	v_add_f32_e32 v56, v65, v56
	v_mul_f32_e32 v65, 0x3f62ad3f, v24
	v_add_f32_e32 v49, v66, v49
	v_fmamk_f32 v66, v26, 0xbeedf032, v65
	v_fma_f32 v35, v15, s8, -v35
	v_fmac_f32_e32 v65, 0x3eedf032, v26
	v_add_f32_e32 v35, v35, v43
	v_add_f32_e32 v43, v65, v47
	v_mul_f32_e32 v47, 0xbf7e222b, v29
	;; [unrolled: 10-line block ×3, first 2 shown]
	v_fmamk_f32 v65, v15, 0xbf788fa5, v57
	v_mul_f32_e32 v67, 0xbf788fa5, v24
	v_add_f32_e32 v65, v65, v70
	v_fmamk_f32 v70, v26, 0xbe750f2a, v67
	v_fma_f32 v57, v15, s7, -v57
	v_fmac_f32_e32 v67, 0x3e750f2a, v26
	v_mul_f32_e32 v29, 0x3f52af12, v29
	v_mul_f32_e32 v24, 0x3f116cb1, v24
	v_add_f32_e32 v57, v57, v59
	v_add_f32_e32 v59, v67, v61
	v_fmamk_f32 v61, v15, 0x3f116cb1, v29
	v_fmamk_f32 v67, v26, 0xbf52af12, v24
	v_fma_f32 v15, v15, s9, -v29
	v_fmac_f32_e32 v24, 0x3f52af12, v26
	v_sub_f32_e32 v29, v63, v40
	v_add_f32_e32 v13, v15, v13
	v_add_f32_e32 v14, v24, v14
	;; [unrolled: 1-line block ×4, first 2 shown]
	v_mul_f32_e32 v40, 0xbf29c268, v29
	v_sub_f32_e32 v26, v50, v64
	v_fmamk_f32 v50, v15, 0xbf3f9e67, v40
	v_add_f32_e32 v33, v50, v33
	v_mul_f32_e32 v50, 0xbf3f9e67, v24
	v_fma_f32 v40, v15, s15, -v40
	v_fmamk_f32 v63, v26, 0x3f29c268, v50
	v_add_f32_e32 v30, v40, v30
	v_fmac_f32_e32 v50, 0xbf29c268, v26
	v_mul_f32_e32 v40, 0x3f7e222b, v29
	v_add_f32_e32 v31, v50, v31
	v_fmamk_f32 v50, v15, 0x3df6dbef, v40
	v_add_f32_e32 v45, v50, v45
	v_mul_f32_e32 v50, 0x3df6dbef, v24
	v_add_f32_e32 v41, v63, v41
	v_fmamk_f32 v63, v26, 0xbf7e222b, v50
	v_fma_f32 v40, v15, s6, -v40
	v_add_f32_e32 v49, v63, v49
	v_add_f32_e32 v63, v40, v32
	v_mul_f32_e32 v32, 0xbf52af12, v29
	v_fmac_f32_e32 v50, 0x3f7e222b, v26
	v_fmamk_f32 v40, v15, 0x3f116cb1, v32
	v_add_f32_e32 v34, v50, v34
	v_add_f32_e32 v50, v40, v56
	v_mul_f32_e32 v40, 0x3f116cb1, v24
	v_fma_f32 v32, v15, s9, -v32
	v_fmamk_f32 v56, v26, 0x3f52af12, v40
	v_add_f32_e32 v35, v32, v35
	v_fmac_f32_e32 v40, 0xbf52af12, v26
	v_mul_f32_e32 v32, 0x3e750f2a, v29
	v_add_f32_e32 v56, v56, v58
	v_add_f32_e32 v58, v40, v43
	v_fmamk_f32 v40, v15, 0xbf788fa5, v32
	v_add_f32_e32 v60, v40, v60
	v_mul_f32_e32 v40, 0xbf788fa5, v24
	v_fma_f32 v32, v15, s7, -v32
	v_fmamk_f32 v43, v26, 0xbe750f2a, v40
	v_add_f32_e32 v47, v32, v47
	v_fmac_f32_e32 v40, 0x3e750f2a, v26
	v_mul_f32_e32 v32, 0x3eedf032, v29
	v_add_f32_e32 v75, v75, v87
	v_add_f32_e32 v85, v85, v91
	;; [unrolled: 1-line block ×3, first 2 shown]
	v_fmamk_f32 v40, v15, 0x3f62ad3f, v32
	v_add_f32_e32 v75, v86, v75
	v_add_f32_e32 v73, v73, v85
	;; [unrolled: 1-line block ×4, first 2 shown]
	v_mul_f32_e32 v40, 0x3f62ad3f, v24
	v_fma_f32 v32, v15, s8, -v32
	v_mul_f32_e32 v29, 0xbf6f5d39, v29
	v_add_f32_e32 v70, v70, v75
	v_add_f32_e32 v61, v61, v72
	;; [unrolled: 1-line block ×4, first 2 shown]
	v_fmamk_f32 v43, v26, 0xbeedf032, v40
	v_add_f32_e32 v57, v32, v57
	v_fmamk_f32 v32, v15, 0xbeb58ec6, v29
	v_mul_f32_e32 v24, 0xbeb58ec6, v24
	v_fma_f32 v15, v15, s13, -v29
	v_add_f32_e32 v73, v46, v48
	v_sub_f32_e32 v74, v46, v48
	v_sub_f32_e32 v48, v44, v42
	v_add_f32_e32 v66, v43, v70
	v_add_f32_e32 v61, v32, v61
	v_fmamk_f32 v32, v26, 0x3f6f5d39, v24
	v_add_f32_e32 v71, v15, v13
	v_fmac_f32_e32 v24, 0xbf6f5d39, v26
	v_add_f32_e32 v70, v44, v42
	v_mul_f32_e32 v13, 0xbe750f2a, v48
	v_add_f32_e32 v72, v24, v14
	v_fmamk_f32 v14, v73, 0xbf788fa5, v13
	v_mul_f32_e32 v15, 0xbf788fa5, v70
	v_add_f32_e32 v33, v14, v33
	v_fmamk_f32 v14, v74, 0x3e750f2a, v15
	v_fma_f32 v13, v73, s7, -v13
	v_fmac_f32_e32 v15, 0xbe750f2a, v74
	v_mul_f32_e32 v24, 0x3eedf032, v48
	v_fmac_f32_e32 v40, 0x3eedf032, v26
	v_add_f32_e32 v67, v32, v67
	v_add_f32_e32 v32, v13, v30
	;; [unrolled: 1-line block ×3, first 2 shown]
	v_fmamk_f32 v15, v73, 0x3f62ad3f, v24
	v_mul_f32_e32 v26, 0x3f62ad3f, v70
	v_add_f32_e32 v59, v40, v59
	v_add_f32_e32 v40, v15, v45
	v_fmamk_f32 v15, v74, 0xbeedf032, v26
	v_fma_f32 v24, v73, s8, -v24
	v_fmac_f32_e32 v26, 0x3eedf032, v74
	v_mul_f32_e32 v29, 0xbf29c268, v48
	v_add_f32_e32 v14, v14, v41
	v_add_f32_e32 v41, v24, v63
	;; [unrolled: 1-line block ×3, first 2 shown]
	v_fmamk_f32 v26, v73, 0xbf3f9e67, v29
	v_mul_f32_e32 v30, 0xbf3f9e67, v70
	v_add_f32_e32 v42, v26, v50
	v_fmamk_f32 v26, v74, 0x3f29c268, v30
	v_fma_f32 v29, v73, s15, -v29
	v_fmac_f32_e32 v30, 0xbf29c268, v74
	v_mul_f32_e32 v31, 0x3f52af12, v48
	v_add_f32_e32 v43, v29, v35
	v_add_f32_e32 v29, v30, v58
	v_fmamk_f32 v30, v73, 0x3f116cb1, v31
	v_mul_f32_e32 v34, 0x3f116cb1, v70
	v_add_f32_e32 v44, v30, v60
	v_fmamk_f32 v30, v74, 0xbf52af12, v34
	v_fma_f32 v31, v73, s9, -v31
	v_fmac_f32_e32 v34, 0x3f52af12, v74
	v_mul_f32_e32 v35, 0xbf6f5d39, v48
	v_add_f32_e32 v15, v15, v49
	v_add_f32_e32 v45, v31, v47
	;; [unrolled: 1-line block ×3, first 2 shown]
	v_fmamk_f32 v34, v73, 0xbeb58ec6, v35
	v_mul_f32_e32 v49, 0xbeb58ec6, v70
	v_add_f32_e32 v46, v34, v65
	v_fmamk_f32 v34, v74, 0x3f6f5d39, v49
	v_fma_f32 v35, v73, s13, -v35
	v_fmac_f32_e32 v49, 0xbf6f5d39, v74
	v_mul_f32_e32 v50, 0x3df6dbef, v70
	v_add_f32_e32 v47, v35, v57
	v_add_f32_e32 v35, v49, v59
	v_mul_f32_e32 v49, 0x3f7e222b, v48
	v_fmamk_f32 v55, v74, 0xbf7e222b, v50
	v_fmamk_f32 v48, v73, 0x3df6dbef, v49
	v_add_f32_e32 v70, v55, v67
	v_fma_f32 v49, v73, s6, -v49
	v_fmac_f32_e32 v50, 0x3f7e222b, v74
	v_add_f32_e32 v55, v27, v54
	v_add_f32_e32 v49, v49, v71
	;; [unrolled: 1-line block ×24, first 2 shown]
	v_sub_f32_e32 v90, v54, v53
	v_add_f32_e32 v50, v50, v19
	v_add_f32_e32 v72, v55, v53
	;; [unrolled: 1-line block ×3, first 2 shown]
	v_sub_f32_e32 v89, v52, v51
	v_mul_f32_e32 v53, 0xbeedf032, v90
	v_mul_f32_e32 v55, 0x3f62ad3f, v87
	v_add_f32_e32 v50, v50, v51
	v_fmamk_f32 v51, v86, 0x3f62ad3f, v53
	v_fmamk_f32 v52, v89, 0x3eedf032, v55
	v_fma_f32 v53, v86, s8, -v53
	v_fmac_f32_e32 v55, 0xbeedf032, v89
	v_mul_f32_e32 v57, 0xbf52af12, v90
	v_mul_f32_e32 v59, 0x3f116cb1, v87
	v_add_f32_e32 v26, v26, v56
	v_add_f32_e32 v30, v30, v64
	;; [unrolled: 1-line block ×5, first 2 shown]
	v_fmamk_f32 v55, v86, 0x3f116cb1, v57
	v_fmamk_f32 v56, v89, 0x3f52af12, v59
	v_fma_f32 v57, v86, s9, -v57
	v_fmac_f32_e32 v59, 0xbf52af12, v89
	v_mul_f32_e32 v61, 0xbf7e222b, v90
	v_mul_f32_e32 v64, 0x3df6dbef, v87
	v_add_f32_e32 v34, v34, v66
	v_add_f32_e32 v58, v25, v57
	;; [unrolled: 1-line block ×3, first 2 shown]
	v_fmamk_f32 v59, v86, 0x3df6dbef, v61
	v_fmamk_f32 v60, v89, 0x3f7e222b, v64
	v_fma_f32 v61, v86, s6, -v61
	v_fmac_f32_e32 v64, 0xbf7e222b, v89
	v_mul_f32_e32 v66, 0xbf6f5d39, v90
	v_mul_f32_e32 v73, 0xbeb58ec6, v87
	v_add_f32_e32 v63, v25, v61
	v_add_f32_e32 v61, v27, v64
	v_fmamk_f32 v64, v86, 0xbeb58ec6, v66
	v_fmamk_f32 v65, v89, 0x3f6f5d39, v73
	v_fma_f32 v66, v86, s13, -v66
	v_fmac_f32_e32 v73, 0xbf6f5d39, v89
	v_mul_f32_e32 v75, 0xbf29c268, v90
	v_mul_f32_e32 v91, 0xbf3f9e67, v87
	;; [unrolled: 1-line block ×3, first 2 shown]
	v_add_f32_e32 v67, v25, v66
	v_add_f32_e32 v66, v27, v73
	v_fmamk_f32 v73, v86, 0xbf3f9e67, v75
	v_fmamk_f32 v74, v89, 0x3f29c268, v91
	v_fma_f32 v75, v86, s15, -v75
	v_fmac_f32_e32 v91, 0xbf29c268, v89
	v_mul_f32_e32 v90, 0xbe750f2a, v90
	v_fmamk_f32 v92, v89, 0x3e750f2a, v87
	v_fmac_f32_e32 v87, 0xbe750f2a, v89
	v_add_f32_e32 v52, v27, v52
	v_add_f32_e32 v56, v27, v56
	;; [unrolled: 1-line block ×7, first 2 shown]
	v_fmamk_f32 v91, v86, 0xbf788fa5, v90
	v_add_f32_e32 v92, v27, v92
	v_fma_f32 v86, v86, s7, -v90
	v_add_f32_e32 v27, v27, v87
	v_add_f32_e32 v87, v23, v12
	v_sub_f32_e32 v12, v23, v12
	v_add_f32_e32 v51, v25, v51
	v_add_f32_e32 v55, v25, v55
	;; [unrolled: 1-line block ×8, first 2 shown]
	v_mul_f32_e32 v23, 0xbf52af12, v12
	v_sub_f32_e32 v19, v28, v19
	v_fmamk_f32 v28, v86, 0x3f116cb1, v23
	v_add_f32_e32 v28, v28, v51
	v_mul_f32_e32 v51, 0x3f116cb1, v87
	v_fmamk_f32 v89, v19, 0x3f52af12, v51
	v_fmac_f32_e32 v51, 0xbf52af12, v19
	v_fma_f32 v23, v86, s9, -v23
	v_add_f32_e32 v51, v51, v53
	v_mul_f32_e32 v53, 0xbf6f5d39, v12
	v_add_f32_e32 v23, v23, v54
	v_fmamk_f32 v54, v86, 0xbeb58ec6, v53
	v_add_f32_e32 v54, v54, v55
	v_mul_f32_e32 v55, 0xbeb58ec6, v87
	v_add_f32_e32 v52, v89, v52
	v_fmamk_f32 v89, v19, 0x3f6f5d39, v55
	v_fmac_f32_e32 v55, 0xbf6f5d39, v19
	v_fma_f32 v53, v86, s13, -v53
	v_add_f32_e32 v55, v55, v57
	v_mul_f32_e32 v57, 0xbe750f2a, v12
	v_add_f32_e32 v53, v53, v58
	v_fmamk_f32 v58, v86, 0xbf788fa5, v57
	v_add_f32_e32 v58, v58, v59
	v_mul_f32_e32 v59, 0xbf788fa5, v87
	v_add_f32_e32 v56, v89, v56
	;; [unrolled: 10-line block ×3, first 2 shown]
	v_fmamk_f32 v89, v19, 0xbf29c268, v64
	v_fmac_f32_e32 v64, 0x3f29c268, v19
	v_fma_f32 v61, v86, s15, -v61
	v_add_f32_e32 v64, v64, v66
	v_mul_f32_e32 v66, 0x3f7e222b, v12
	v_add_f32_e32 v61, v61, v67
	v_fmamk_f32 v67, v86, 0x3df6dbef, v66
	v_fma_f32 v66, v86, s6, -v66
	v_add_f32_e32 v67, v67, v73
	v_mul_f32_e32 v73, 0x3df6dbef, v87
	v_add_f32_e32 v66, v66, v85
	v_mul_f32_e32 v85, 0x3f62ad3f, v87
	v_add_f32_e32 v65, v89, v65
	v_fmamk_f32 v89, v19, 0xbf7e222b, v73
	v_fmac_f32_e32 v73, 0x3f7e222b, v19
	v_mul_f32_e32 v12, 0x3eedf032, v12
	v_fmamk_f32 v87, v19, 0xbeedf032, v85
	v_fmac_f32_e32 v85, 0x3eedf032, v19
	v_add_f32_e32 v73, v73, v75
	v_fmamk_f32 v75, v86, 0x3f62ad3f, v12
	v_fma_f32 v12, v86, s8, -v12
	v_add_f32_e32 v19, v85, v27
	v_add_f32_e32 v27, v22, v18
	v_sub_f32_e32 v18, v22, v18
	v_add_f32_e32 v12, v12, v25
	v_add_f32_e32 v25, v21, v17
	v_sub_f32_e32 v17, v21, v17
	v_mul_f32_e32 v21, 0xbf7e222b, v18
	v_fmamk_f32 v22, v25, 0x3df6dbef, v21
	v_add_f32_e32 v22, v22, v28
	v_mul_f32_e32 v28, 0x3df6dbef, v27
	v_fmamk_f32 v85, v17, 0x3f7e222b, v28
	v_fma_f32 v21, v25, s6, -v21
	v_fmac_f32_e32 v28, 0xbf7e222b, v17
	v_add_f32_e32 v21, v21, v23
	v_add_f32_e32 v23, v28, v51
	v_mul_f32_e32 v28, 0xbe750f2a, v18
	v_fmamk_f32 v51, v25, 0xbf788fa5, v28
	v_add_f32_e32 v51, v51, v54
	v_mul_f32_e32 v54, 0xbf788fa5, v27
	v_add_f32_e32 v52, v85, v52
	v_fmamk_f32 v85, v17, 0x3e750f2a, v54
	v_fma_f32 v28, v25, s7, -v28
	v_fmac_f32_e32 v54, 0xbe750f2a, v17
	v_add_f32_e32 v28, v28, v53
	v_add_f32_e32 v53, v54, v55
	v_mul_f32_e32 v54, 0x3f6f5d39, v18
	v_fmamk_f32 v55, v25, 0xbeb58ec6, v54
	v_add_f32_e32 v55, v55, v58
	v_mul_f32_e32 v58, 0xbeb58ec6, v27
	v_add_f32_e32 v56, v85, v56
	;; [unrolled: 10-line block ×4, first 2 shown]
	v_fmamk_f32 v85, v17, 0x3f52af12, v67
	v_fma_f32 v63, v25, s9, -v63
	v_fmac_f32_e32 v67, 0xbf52af12, v17
	v_mul_f32_e32 v27, 0xbf3f9e67, v27
	v_add_f32_e32 v63, v63, v66
	v_add_f32_e32 v66, v67, v73
	v_mul_f32_e32 v18, 0xbf29c268, v18
	v_fmamk_f32 v73, v17, 0x3f29c268, v27
	v_fmac_f32_e32 v27, 0xbf29c268, v17
	v_fmamk_f32 v67, v25, 0xbf3f9e67, v18
	v_fma_f32 v18, v25, s15, -v18
	v_add_f32_e32 v17, v27, v19
	v_add_f32_e32 v19, v11, v16
	v_sub_f32_e32 v11, v11, v16
	v_add_f32_e32 v12, v18, v12
	v_add_f32_e32 v18, v20, v3
	v_mul_f32_e32 v16, 0xbf6f5d39, v11
	v_sub_f32_e32 v3, v20, v3
	v_fmamk_f32 v20, v18, 0xbeb58ec6, v16
	v_add_f32_e32 v20, v20, v22
	v_mul_f32_e32 v22, 0xbeb58ec6, v19
	v_fmamk_f32 v25, v3, 0x3f6f5d39, v22
	v_fma_f32 v16, v18, s13, -v16
	v_fmac_f32_e32 v22, 0xbf6f5d39, v3
	v_add_f32_e32 v16, v16, v21
	v_add_f32_e32 v21, v22, v23
	v_mul_f32_e32 v22, 0x3f29c268, v11
	v_fmamk_f32 v23, v18, 0xbf3f9e67, v22
	v_mul_f32_e32 v27, 0xbf3f9e67, v19
	v_fma_f32 v22, v18, s15, -v22
	v_add_f32_e32 v23, v23, v51
	v_fmamk_f32 v51, v3, 0xbf29c268, v27
	v_add_f32_e32 v22, v22, v28
	v_fmac_f32_e32 v27, 0x3f29c268, v3
	v_mul_f32_e32 v28, 0x3eedf032, v11
	v_add_f32_e32 v25, v25, v52
	v_add_f32_e32 v27, v27, v53
	v_fmamk_f32 v52, v18, 0x3f62ad3f, v28
	v_mul_f32_e32 v53, 0x3f62ad3f, v19
	v_fma_f32 v28, v18, s8, -v28
	v_add_f32_e32 v52, v52, v55
	v_fmamk_f32 v55, v3, 0xbeedf032, v53
	v_add_f32_e32 v28, v28, v54
	v_fmac_f32_e32 v53, 0x3eedf032, v3
	v_mul_f32_e32 v54, 0xbf7e222b, v11
	v_add_f32_e32 v51, v51, v56
	v_add_f32_e32 v53, v53, v57
	v_fmamk_f32 v56, v18, 0x3df6dbef, v54
	v_mul_f32_e32 v57, 0x3df6dbef, v19
	v_add_f32_e32 v56, v56, v59
	v_fmamk_f32 v59, v3, 0x3f7e222b, v57
	v_fma_f32 v54, v18, s6, -v54
	v_fmac_f32_e32 v57, 0xbf7e222b, v3
	v_add_f32_e32 v54, v54, v58
	v_add_f32_e32 v57, v57, v61
	v_mul_f32_e32 v58, 0x3e750f2a, v11
	v_mul_f32_e32 v61, 0xbf788fa5, v19
	;; [unrolled: 1-line block ×3, first 2 shown]
	v_add_f32_e32 v55, v55, v60
	v_add_f32_e32 v59, v59, v65
	v_fmamk_f32 v60, v18, 0xbf788fa5, v58
	v_fma_f32 v58, v18, s7, -v58
	v_mul_f32_e32 v11, 0x3f52af12, v11
	v_fmamk_f32 v65, v3, 0xbf52af12, v19
	v_fmac_f32_e32 v19, 0x3f52af12, v3
	v_add_f32_e32 v60, v60, v64
	v_fmamk_f32 v64, v3, 0xbe750f2a, v61
	v_add_f32_e32 v58, v58, v63
	v_fmac_f32_e32 v61, 0x3e750f2a, v3
	v_fmamk_f32 v63, v18, 0x3f116cb1, v11
	v_fma_f32 v11, v18, s9, -v11
	v_add_f32_e32 v3, v19, v17
	v_add_f32_e32 v17, v9, v2
	v_sub_f32_e32 v2, v9, v2
	v_add_f32_e32 v11, v11, v12
	v_add_f32_e32 v12, v8, v10
	v_sub_f32_e32 v8, v8, v10
	v_mul_f32_e32 v9, 0xbf29c268, v2
	v_mul_f32_e32 v18, 0xbf3f9e67, v17
	v_fmamk_f32 v10, v12, 0xbf3f9e67, v9
	v_fmamk_f32 v19, v8, 0x3f29c268, v18
	v_fma_f32 v9, v12, s15, -v9
	v_fmac_f32_e32 v18, 0xbf29c268, v8
	v_add_f32_e32 v9, v9, v16
	v_add_f32_e32 v16, v18, v21
	v_mul_f32_e32 v18, 0x3f7e222b, v2
	v_add_f32_e32 v10, v10, v20
	v_fmamk_f32 v20, v12, 0x3df6dbef, v18
	v_fma_f32 v18, v12, s6, -v18
	v_add_f32_e32 v18, v18, v22
	v_mul_f32_e32 v22, 0xbf52af12, v2
	v_add_f32_e32 v19, v19, v25
	v_mul_f32_e32 v21, 0x3df6dbef, v17
	v_fmamk_f32 v25, v12, 0x3f116cb1, v22
	v_fma_f32 v22, v12, s9, -v22
	v_add_f32_e32 v20, v20, v23
	v_fmamk_f32 v23, v8, 0xbf7e222b, v21
	v_fmac_f32_e32 v21, 0x3f7e222b, v8
	v_add_f32_e32 v22, v22, v28
	v_mul_f32_e32 v28, 0x3e750f2a, v2
	v_add_f32_e32 v21, v21, v27
	v_add_f32_e32 v25, v25, v52
	v_mul_f32_e32 v27, 0x3f116cb1, v17
	v_fmamk_f32 v52, v12, 0xbf788fa5, v28
	v_fma_f32 v28, v12, s7, -v28
	v_add_f32_e32 v23, v23, v51
	v_fmamk_f32 v51, v8, 0x3f52af12, v27
	v_fmac_f32_e32 v27, 0xbf52af12, v8
	v_add_f32_e32 v28, v28, v54
	v_mul_f32_e32 v54, 0x3eedf032, v2
	v_add_f32_e32 v27, v27, v53
	v_add_f32_e32 v52, v52, v56
	v_mul_f32_e32 v53, 0xbf788fa5, v17
	v_fmamk_f32 v56, v12, 0x3f62ad3f, v54
	v_fma_f32 v54, v12, s8, -v54
	v_mul_f32_e32 v2, 0xbf6f5d39, v2
	v_add_f32_e32 v51, v51, v55
	v_fmamk_f32 v55, v8, 0xbe750f2a, v53
	v_fmac_f32_e32 v53, 0x3e750f2a, v8
	v_add_f32_e32 v54, v54, v58
	v_fmamk_f32 v58, v12, 0xbeb58ec6, v2
	v_fma_f32 v2, v12, s13, -v2
	v_add_f32_e32 v53, v53, v57
	v_mul_f32_e32 v57, 0x3f62ad3f, v17
	v_mul_f32_e32 v17, 0xbeb58ec6, v17
	v_add_f32_e32 v2, v2, v11
	v_add_f32_e32 v11, v5, v7
	v_sub_f32_e32 v5, v5, v7
	v_add_f32_e32 v55, v55, v59
	v_add_f32_e32 v56, v56, v60
	v_fmamk_f32 v59, v8, 0xbeedf032, v57
	v_fmac_f32_e32 v57, 0x3eedf032, v8
	v_fmamk_f32 v60, v8, 0x3f6f5d39, v17
	v_fmac_f32_e32 v17, 0xbf6f5d39, v8
	v_add_f32_e32 v8, v4, v6
	v_sub_f32_e32 v4, v4, v6
	v_mul_f32_e32 v6, 0xbe750f2a, v5
	v_fmamk_f32 v7, v8, 0xbf788fa5, v6
	v_add_f32_e32 v7, v7, v10
	v_mul_f32_e32 v10, 0xbf788fa5, v11
	v_fmamk_f32 v12, v4, 0x3e750f2a, v10
	v_fma_f32 v6, v8, s7, -v6
	v_fmac_f32_e32 v10, 0xbe750f2a, v4
	v_add_f32_e32 v6, v6, v9
	v_add_f32_e32 v9, v10, v16
	v_mul_f32_e32 v10, 0x3eedf032, v5
	v_add_f32_e32 v3, v17, v3
	v_fmamk_f32 v16, v8, 0x3f62ad3f, v10
	v_mul_f32_e32 v17, 0x3f62ad3f, v11
	v_fma_f32 v10, v8, s8, -v10
	v_add_f32_e32 v12, v12, v19
	v_fmamk_f32 v19, v4, 0xbeedf032, v17
	v_add_f32_e32 v10, v10, v18
	v_fmac_f32_e32 v17, 0x3eedf032, v4
	v_mul_f32_e32 v18, 0xbf29c268, v5
	v_add_f32_e32 v16, v16, v20
	v_add_f32_e32 v17, v17, v21
	v_fmamk_f32 v20, v8, 0xbf3f9e67, v18
	v_mul_f32_e32 v21, 0xbf3f9e67, v11
	v_fma_f32 v18, v8, s15, -v18
	v_add_f32_e32 v74, v89, v74
	v_add_f32_e32 v19, v19, v23
	v_fmamk_f32 v23, v4, 0x3f29c268, v21
	v_add_f32_e32 v18, v18, v22
	v_fmac_f32_e32 v21, 0xbf29c268, v4
	v_mul_f32_e32 v22, 0x3f52af12, v5
	v_add_f32_e32 v74, v85, v74
	v_add_f32_e32 v20, v20, v25
	;; [unrolled: 1-line block ×3, first 2 shown]
	v_fmamk_f32 v25, v8, 0x3f116cb1, v22
	v_mul_f32_e32 v27, 0x3f116cb1, v11
	v_add_f32_e32 v64, v64, v74
	v_add_f32_e32 v23, v23, v51
	;; [unrolled: 1-line block ×3, first 2 shown]
	v_fmamk_f32 v51, v4, 0xbf52af12, v27
	v_fmac_f32_e32 v27, 0x3f52af12, v4
	v_mul_f32_e32 v52, 0xbeb58ec6, v11
	v_add_f32_e32 v59, v59, v64
	v_add_f32_e32 v27, v27, v53
	v_fmamk_f32 v53, v4, 0x3f6f5d39, v52
	v_mul_f32_e32 v11, 0x3df6dbef, v11
	v_add_f32_e32 v74, v53, v59
	v_fmac_f32_e32 v52, 0xbf6f5d39, v4
	v_fmamk_f32 v53, v4, 0xbf7e222b, v11
	v_fmac_f32_e32 v11, 0x3f7e222b, v4
	v_lshrrev_b32_e32 v4, 1, v88
	v_mul_u32_u24_e32 v4, 26, v4
	v_or_b32_e32 v4, v4, v62
	v_add_f32_e32 v75, v75, v91
	v_lshl_add_u32 v4, v4, 2, 0
	v_add_f32_e32 v87, v87, v92
	v_add_f32_e32 v67, v67, v75
	;; [unrolled: 1-line block ×3, first 2 shown]
	v_fma_f32 v22, v8, s9, -v22
	ds_write2_b32 v4, v1, v33 offset1:2
	ds_write2_b32 v4, v40, v42 offset0:4 offset1:6
	ds_write2_b32 v4, v44, v46 offset0:8 offset1:10
	;; [unrolled: 1-line block ×5, first 2 shown]
	ds_write_b32 v4, v32 offset:96
	v_lshrrev_b32_e32 v1, 1, v68
	v_add_f32_e32 v73, v73, v87
	v_add_f32_e32 v63, v63, v67
	;; [unrolled: 1-line block ×4, first 2 shown]
	v_mul_f32_e32 v28, 0xbf6f5d39, v5
	v_mul_f32_e32 v5, 0x3f7e222b, v5
	v_mul_u32_u24_e32 v1, 26, v1
	v_add_f32_e32 v65, v65, v73
	v_add_f32_e32 v58, v58, v63
	;; [unrolled: 1-line block ×3, first 2 shown]
	v_fmamk_f32 v51, v8, 0xbeb58ec6, v28
	v_add_f32_e32 v75, v52, v57
	v_fmamk_f32 v52, v8, 0x3df6dbef, v5
	v_or_b32_e32 v1, v1, v62
	v_subrev_u32_e32 v89, 26, v88
	v_add_f32_e32 v60, v60, v65
	v_add_f32_e32 v51, v51, v56
	v_fma_f32 v28, v8, s13, -v28
	v_add_f32_e32 v52, v52, v58
	v_fma_f32 v5, v8, s6, -v5
	v_lshl_add_u32 v1, v1, 2, 0
	v_cndmask_b32_e64 v104, v89, v88, s[0:1]
	v_add_f32_e32 v28, v28, v54
	v_add_f32_e32 v85, v53, v60
	;; [unrolled: 1-line block ×4, first 2 shown]
	ds_write2_b32 v1, v50, v7 offset1:2
	ds_write2_b32 v1, v16, v20 offset0:4 offset1:6
	ds_write2_b32 v1, v25, v51 offset0:8 offset1:10
	ds_write2_b32 v1, v52, v2 offset0:12 offset1:14
	ds_write2_b32 v1, v28, v22 offset0:16 offset1:18
	ds_write2_b32 v1, v18, v10 offset0:20 offset1:22
	ds_write_b32 v1, v6 offset:96
	s_waitcnt lgkmcnt(0)
	; wave barrier
	s_waitcnt lgkmcnt(0)
	ds_read2_b32 v[42:43], v84 offset1:52
	ds_read2_b32 v[66:67], v84 offset0:104 offset1:156
	ds_read2_b32 v[64:65], v76 offset0:80 offset1:132
	;; [unrolled: 1-line block ×12, first 2 shown]
	s_waitcnt lgkmcnt(0)
	; wave barrier
	s_waitcnt lgkmcnt(0)
	ds_write2_b32 v4, v0, v14 offset1:2
	ds_write2_b32 v4, v15, v26 offset0:4 offset1:6
	ds_write2_b32 v4, v30, v34 offset0:8 offset1:10
	;; [unrolled: 1-line block ×5, first 2 shown]
	ds_write_b32 v4, v13 offset:96
	ds_write2_b32 v1, v72, v12 offset1:2
	ds_write2_b32 v1, v19, v23 offset0:4 offset1:6
	ds_write2_b32 v1, v73, v74 offset0:8 offset1:10
	;; [unrolled: 1-line block ×5, first 2 shown]
	ds_write_b32 v1, v9 offset:96
	v_mul_i32_i24_e32 v0, 12, v104
	v_mov_b32_e32 v1, 0
	v_lshl_add_u64 v[24:25], v[0:1], 3, s[4:5]
	s_movk_i32 s0, 0x4f
	s_waitcnt lgkmcnt(0)
	; wave barrier
	s_waitcnt lgkmcnt(0)
	global_load_dwordx4 v[16:19], v[24:25], off offset:192
	global_load_dwordx4 v[8:11], v[24:25], off offset:208
	global_load_dwordx4 v[4:7], v[24:25], off offset:224
	global_load_dwordx4 v[0:3], v[24:25], off offset:240
	global_load_dwordx4 v[20:23], v[24:25], off offset:256
	global_load_dwordx4 v[12:15], v[24:25], off offset:272
	v_mul_lo_u16_sdwa v24, v68, s0 dst_sel:DWORD dst_unused:UNUSED_PAD src0_sel:BYTE_0 src1_sel:DWORD
	v_lshrrev_b16_e32 v96, 11, v24
	v_mul_lo_u16_e32 v24, 26, v96
	v_sub_u16_e32 v97, v68, v24
	v_mov_b32_e32 v24, 12
	v_mul_u32_u24_sdwa v24, v97, v24 dst_sel:DWORD dst_unused:UNUSED_PAD src0_sel:BYTE_0 src1_sel:DWORD
	v_lshlrev_b32_e32 v85, 3, v24
	global_load_dwordx4 v[108:111], v85, s[4:5] offset:192
	global_load_dwordx4 v[32:35], v85, s[4:5] offset:208
	;; [unrolled: 1-line block ×4, first 2 shown]
	ds_read2_b32 v[40:41], v84 offset1:52
	ds_read2_b32 v[120:121], v84 offset0:104 offset1:156
	ds_read2_b32 v[122:123], v76 offset0:80 offset1:132
	ds_read2_b32 v[124:125], v80 offset0:56 offset1:108
	ds_read2_b32 v[126:127], v80 offset0:160 offset1:212
	ds_read2_b32 v[128:129], v77 offset0:8 offset1:60
	ds_read2_b32 v[130:131], v77 offset0:112 offset1:164
	ds_read2_b32 v[132:133], v69 offset0:88 offset1:140
	ds_read2_b32 v[134:135], v78 offset0:64 offset1:116
	ds_read2_b32 v[74:75], v78 offset0:168 offset1:220
	ds_read2_b32 v[72:73], v79 offset0:16 offset1:68
	ds_read2_b32 v[70:71], v79 offset0:120 offset1:172
	ds_read2_b32 v[68:69], v81 offset0:96 offset1:148
	global_load_dwordx4 v[112:115], v85, s[4:5] offset:272
	global_load_dwordx4 v[116:119], v85, s[4:5] offset:256
	s_mov_b32 s1, 0x3eedf032
	s_mov_b32 s0, s17
	s_waitcnt lgkmcnt(0)
	; wave barrier
	s_waitcnt vmcnt(11) lgkmcnt(0)
	v_mul_f32_e32 v87, v120, v17
	v_mul_f32_e32 v17, v66, v17
	;; [unrolled: 1-line block ×3, first 2 shown]
	s_waitcnt vmcnt(8)
	v_mul_f32_e32 v85, v132, v1
	v_mul_f32_e32 v1, v54, v1
	v_fmac_f32_e32 v85, v54, v0
	v_fma_f32 v86, v132, v0, -v1
	v_mul_f32_e32 v0, v52, v3
	v_fma_f32 v93, v134, v2, -v0
	s_waitcnt vmcnt(7)
	v_mul_f32_e32 v0, v50, v21
	v_mul_f32_e32 v98, v74, v21
	v_fma_f32 v74, v74, v20, -v0
	v_mul_f32_e32 v0, v48, v23
	v_mul_f32_e32 v101, v72, v23
	v_fma_f32 v72, v72, v22, -v0
	s_waitcnt vmcnt(6)
	v_mul_f32_e32 v0, v46, v13
	v_mul_f32_e32 v105, v70, v13
	v_fma_f32 v70, v70, v12, -v0
	v_mul_f32_e32 v0, v44, v15
	v_mul_f32_e32 v107, v68, v15
	v_fma_f32 v68, v68, v14, -v0
	s_waitcnt vmcnt(5)
	v_mul_f32_e32 v0, v67, v109
	v_fmac_f32_e32 v87, v66, v16
	v_fma_f32 v106, v120, v16, -v17
	v_fmac_f32_e32 v102, v64, v18
	v_mul_f32_e32 v16, v64, v19
	v_mul_f32_e32 v99, v124, v9
	;; [unrolled: 1-line block ×4, first 2 shown]
	v_fma_f32 v64, v121, v108, -v0
	v_mul_f32_e32 v0, v65, v111
	v_fmac_f32_e32 v99, v62, v8
	v_fma_f32 v100, v124, v8, -v9
	v_fmac_f32_e32 v94, v60, v10
	v_mul_f32_e32 v8, v60, v11
	v_mul_f32_e32 v90, v128, v5
	;; [unrolled: 1-line block ×4, first 2 shown]
	v_fma_f32 v60, v123, v110, -v0
	s_waitcnt vmcnt(4)
	v_mul_f32_e32 v0, v63, v33
	v_fmac_f32_e32 v90, v58, v4
	v_fma_f32 v91, v128, v4, -v5
	v_fmac_f32_e32 v66, v56, v6
	v_mul_f32_e32 v4, v56, v7
	v_mul_f32_e32 v92, v134, v3
	v_fma_f32 v56, v125, v32, -v0
	v_mul_f32_e32 v0, v61, v35
	v_fmac_f32_e32 v92, v52, v2
	v_fma_f32 v52, v127, v34, -v0
	s_waitcnt vmcnt(2)
	v_mul_f32_e32 v0, v59, v29
	v_fma_f32 v11, v129, v28, -v0
	v_mul_f32_e32 v0, v57, v31
	v_fma_f32 v3, v131, v30, -v0
	v_mul_f32_e32 v0, v55, v25
	v_fmac_f32_e32 v105, v46, v12
	v_fma_f32 v7, v133, v24, -v0
	v_mul_f32_e32 v46, v135, v27
	v_mul_f32_e32 v0, v53, v27
	v_fmac_f32_e32 v101, v48, v22
	v_mul_f32_e32 v5, v133, v25
	v_fmac_f32_e32 v46, v53, v26
	v_fma_f32 v48, v135, v26, -v0
	s_waitcnt vmcnt(0)
	v_mul_f32_e32 v53, v75, v117
	v_mul_f32_e32 v0, v51, v117
	;; [unrolled: 1-line block ×3, first 2 shown]
	v_fmac_f32_e32 v5, v55, v24
	v_fmac_f32_e32 v53, v51, v116
	v_fma_f32 v51, v75, v116, -v0
	v_mul_f32_e32 v55, v73, v119
	v_mul_f32_e32 v0, v49, v119
	v_fmac_f32_e32 v1, v57, v30
	v_fmac_f32_e32 v55, v49, v118
	v_fma_f32 v49, v73, v118, -v0
	v_mul_f32_e32 v57, v71, v113
	v_mul_f32_e32 v0, v47, v113
	v_fmac_f32_e32 v98, v50, v20
	v_mul_f32_e32 v50, v127, v35
	v_fmac_f32_e32 v57, v47, v112
	v_fma_f32 v47, v71, v112, -v0
	v_mul_f32_e32 v0, v45, v115
	v_fmac_f32_e32 v50, v61, v34
	v_fma_f32 v61, v69, v114, -v0
	v_add_f32_e32 v0, v42, v87
	v_add_f32_e32 v0, v0, v102
	;; [unrolled: 1-line block ×10, first 2 shown]
	v_fma_f32 v103, v122, v18, -v16
	v_fmac_f32_e32 v107, v44, v14
	v_add_f32_e32 v0, v0, v105
	v_sub_f32_e32 v2, v106, v68
	v_fma_f32 v95, v126, v10, -v8
	v_fma_f32 v81, v130, v6, -v4
	v_mul_f32_e32 v9, v129, v29
	v_add_f32_e32 v29, v0, v107
	v_add_f32_e32 v0, v87, v107
	v_mul_f32_e32 v4, 0xbeedf032, v2
	v_mul_f32_e32 v8, 0xbf52af12, v2
	;; [unrolled: 1-line block ×6, first 2 shown]
	v_sub_f32_e32 v19, v103, v70
	v_fmamk_f32 v6, v0, 0x3f62ad3f, v4
	v_fma_f32 v4, v0, s8, -v4
	v_fmamk_f32 v10, v0, 0x3f116cb1, v8
	v_fma_f32 v8, v0, s9, -v8
	;; [unrolled: 2-line block ×6, first 2 shown]
	v_add_f32_e32 v2, v102, v105
	v_mul_f32_e32 v20, 0xbf52af12, v19
	v_add_f32_e32 v4, v42, v4
	v_fmamk_f32 v21, v2, 0x3f116cb1, v20
	v_fma_f32 v20, v2, s9, -v20
	v_add_f32_e32 v6, v42, v6
	v_add_f32_e32 v4, v20, v4
	v_mul_f32_e32 v20, 0xbf6f5d39, v19
	v_add_f32_e32 v8, v42, v8
	v_add_f32_e32 v6, v21, v6
	v_fmamk_f32 v21, v2, 0xbeb58ec6, v20
	v_fma_f32 v20, v2, s13, -v20
	v_add_f32_e32 v10, v42, v10
	v_add_f32_e32 v8, v20, v8
	v_mul_f32_e32 v20, 0xbe750f2a, v19
	v_add_f32_e32 v12, v42, v12
	;; [unrolled: 7-line block ×4, first 2 shown]
	v_add_f32_e32 v15, v21, v15
	v_fmamk_f32 v21, v2, 0x3df6dbef, v20
	v_fma_f32 v20, v2, s6, -v20
	v_mul_f32_e32 v19, 0x3eedf032, v19
	v_add_f32_e32 v18, v42, v18
	v_add_f32_e32 v0, v42, v0
	;; [unrolled: 1-line block ×3, first 2 shown]
	v_fmamk_f32 v20, v2, 0x3f62ad3f, v19
	v_fma_f32 v2, v2, s8, -v19
	v_sub_f32_e32 v19, v100, v72
	v_add_f32_e32 v17, v42, v17
	v_add_f32_e32 v18, v20, v18
	;; [unrolled: 1-line block ×4, first 2 shown]
	v_mul_f32_e32 v20, 0xbf7e222b, v19
	v_add_f32_e32 v17, v21, v17
	v_fmamk_f32 v21, v2, 0x3df6dbef, v20
	v_fma_f32 v20, v2, s6, -v20
	v_add_f32_e32 v4, v20, v4
	v_mul_f32_e32 v20, 0xbe750f2a, v19
	v_add_f32_e32 v6, v21, v6
	v_fmamk_f32 v21, v2, 0xbf788fa5, v20
	v_fma_f32 v20, v2, s7, -v20
	v_add_f32_e32 v8, v20, v8
	v_mul_f32_e32 v20, 0x3f6f5d39, v19
	v_add_f32_e32 v10, v21, v10
	v_fmamk_f32 v21, v2, 0xbeb58ec6, v20
	v_fma_f32 v20, v2, s13, -v20
	v_add_f32_e32 v12, v20, v12
	v_mul_f32_e32 v20, 0x3eedf032, v19
	v_add_f32_e32 v13, v21, v13
	v_fmamk_f32 v21, v2, 0x3f62ad3f, v20
	v_fma_f32 v20, v2, s8, -v20
	v_add_f32_e32 v14, v20, v14
	v_mul_f32_e32 v20, 0xbf52af12, v19
	v_add_f32_e32 v15, v21, v15
	v_fmamk_f32 v21, v2, 0x3f116cb1, v20
	v_fma_f32 v20, v2, s9, -v20
	v_mul_f32_e32 v19, 0xbf29c268, v19
	v_add_f32_e32 v16, v20, v16
	v_fmamk_f32 v20, v2, 0xbf3f9e67, v19
	v_fma_f32 v2, v2, s15, -v19
	v_sub_f32_e32 v19, v95, v74
	v_add_f32_e32 v18, v20, v18
	v_add_f32_e32 v0, v2, v0
	v_add_f32_e32 v2, v94, v98
	v_mul_f32_e32 v20, 0xbf6f5d39, v19
	v_add_f32_e32 v17, v21, v17
	v_fmamk_f32 v21, v2, 0xbeb58ec6, v20
	v_fma_f32 v20, v2, s13, -v20
	v_add_f32_e32 v4, v20, v4
	v_mul_f32_e32 v20, 0x3f29c268, v19
	v_add_f32_e32 v6, v21, v6
	v_fmamk_f32 v21, v2, 0xbf3f9e67, v20
	v_fma_f32 v20, v2, s15, -v20
	v_add_f32_e32 v8, v20, v8
	;; [unrolled: 5-line block ×4, first 2 shown]
	v_mul_f32_e32 v20, 0x3e750f2a, v19
	v_add_f32_e32 v15, v21, v15
	v_fmamk_f32 v21, v2, 0xbf788fa5, v20
	v_fma_f32 v20, v2, s7, -v20
	v_mul_f32_e32 v19, 0x3f52af12, v19
	v_add_f32_e32 v16, v20, v16
	v_fmamk_f32 v20, v2, 0x3f116cb1, v19
	v_fma_f32 v2, v2, s9, -v19
	v_sub_f32_e32 v19, v91, v93
	v_add_f32_e32 v18, v20, v18
	v_add_f32_e32 v0, v2, v0
	;; [unrolled: 1-line block ×3, first 2 shown]
	v_mul_f32_e32 v20, 0xbf29c268, v19
	v_add_f32_e32 v17, v21, v17
	v_fmamk_f32 v21, v2, 0xbf3f9e67, v20
	v_fma_f32 v20, v2, s15, -v20
	v_add_f32_e32 v4, v20, v4
	v_mul_f32_e32 v20, 0x3f7e222b, v19
	v_add_f32_e32 v6, v21, v6
	v_fmamk_f32 v21, v2, 0x3df6dbef, v20
	v_fma_f32 v20, v2, s6, -v20
	v_add_f32_e32 v8, v20, v8
	;; [unrolled: 5-line block ×3, first 2 shown]
	v_mul_f32_e32 v20, 0x3e750f2a, v19
	v_add_f32_e32 v13, v21, v13
	v_fmamk_f32 v21, v2, 0xbf788fa5, v20
	v_add_f32_e32 v21, v21, v15
	v_fma_f32 v15, v2, s7, -v20
	v_add_f32_e32 v14, v15, v14
	v_mul_f32_e32 v15, 0x3eedf032, v19
	v_fmamk_f32 v20, v2, 0x3f62ad3f, v15
	v_fma_f32 v15, v2, s8, -v15
	v_add_f32_e32 v16, v15, v16
	v_mul_f32_e32 v15, 0xbf6f5d39, v19
	v_add_f32_e32 v20, v20, v17
	v_fmamk_f32 v17, v2, 0xbeb58ec6, v15
	v_fma_f32 v2, v2, s13, -v15
	v_sub_f32_e32 v22, v81, v86
	v_add_f32_e32 v0, v2, v0
	v_add_f32_e32 v2, v66, v85
	v_mul_f32_e32 v15, 0xbe750f2a, v22
	v_mul_f32_e32 v54, v125, v33
	v_add_f32_e32 v18, v17, v18
	v_fmamk_f32 v17, v2, 0xbf788fa5, v15
	v_fmac_f32_e32 v54, v63, v32
	v_add_f32_e32 v32, v17, v6
	v_fma_f32 v6, v2, s7, -v15
	v_add_f32_e32 v15, v6, v4
	v_mul_f32_e32 v4, 0x3eedf032, v22
	v_fmamk_f32 v6, v2, 0x3f62ad3f, v4
	v_fma_f32 v4, v2, s8, -v4
	v_add_f32_e32 v17, v4, v8
	v_mul_f32_e32 v4, 0xbf29c268, v22
	v_add_f32_e32 v30, v6, v10
	v_fmamk_f32 v6, v2, 0xbf3f9e67, v4
	v_fma_f32 v4, v2, s15, -v4
	v_add_f32_e32 v19, v4, v12
	v_mul_f32_e32 v4, 0x3f52af12, v22
	v_add_f32_e32 v31, v6, v13
	;; [unrolled: 5-line block ×3, first 2 shown]
	v_fmamk_f32 v6, v2, 0xbeb58ec6, v4
	v_fma_f32 v4, v2, s13, -v4
	v_mul_f32_e32 v62, v121, v109
	v_add_f32_e32 v25, v4, v16
	v_mul_f32_e32 v4, 0x3f7e222b, v22
	v_fmac_f32_e32 v62, v67, v108
	v_mul_f32_e32 v58, v123, v111
	v_add_f32_e32 v24, v6, v20
	v_fmamk_f32 v6, v2, 0x3df6dbef, v4
	v_fma_f32 v2, v2, s6, -v4
	v_fmac_f32_e32 v58, v65, v110
	v_add_f32_e32 v27, v2, v0
	v_add_f32_e32 v0, v43, v62
	;; [unrolled: 1-line block ×4, first 2 shown]
	v_fmac_f32_e32 v9, v59, v28
	v_add_f32_e32 v0, v0, v50
	v_add_f32_e32 v0, v0, v9
	;; [unrolled: 1-line block ×6, first 2 shown]
	v_mul_f32_e32 v59, v69, v115
	v_add_f32_e32 v0, v0, v55
	v_fmac_f32_e32 v59, v45, v114
	v_add_f32_e32 v0, v0, v57
	v_sub_f32_e32 v14, v64, v61
	v_add_f32_e32 v28, v0, v59
	v_add_f32_e32 v10, v62, v59
	v_mul_f32_e32 v0, 0xbf7e222b, v14
	v_sub_f32_e32 v22, v60, v47
	v_add_f32_e32 v26, v6, v18
	v_fmamk_f32 v2, v10, 0x3df6dbef, v0
	v_fma_f32 v0, v10, s6, -v0
	v_add_f32_e32 v18, v58, v57
	v_mul_f32_e32 v20, 0xbe750f2a, v22
	v_add_f32_e32 v0, v43, v0
	v_mul_f32_e32 v4, 0xbf6f5d39, v14
	v_fmamk_f32 v33, v18, 0xbf788fa5, v20
	v_fma_f32 v20, v18, s7, -v20
	v_add_f32_e32 v2, v43, v2
	v_fmamk_f32 v6, v10, 0xbeb58ec6, v4
	v_fma_f32 v4, v10, s13, -v4
	v_add_f32_e32 v0, v20, v0
	v_mul_f32_e32 v20, 0x3f29c268, v22
	v_add_f32_e32 v4, v43, v4
	v_mul_f32_e32 v8, 0xbf29c268, v14
	v_add_f32_e32 v2, v33, v2
	v_fmamk_f32 v33, v18, 0xbf3f9e67, v20
	v_fma_f32 v20, v18, s15, -v20
	v_add_f32_e32 v6, v43, v6
	v_fmamk_f32 v12, v10, 0xbf3f9e67, v8
	v_add_f32_e32 v4, v20, v4
	v_mul_f32_e32 v20, 0x3f7e222b, v22
	v_add_f32_e32 v12, v43, v12
	v_fma_f32 v8, v10, s15, -v8
	v_add_f32_e32 v6, v33, v6
	v_fmamk_f32 v33, v18, 0x3df6dbef, v20
	v_add_f32_e32 v8, v43, v8
	v_mul_f32_e32 v13, 0xbe750f2a, v14
	v_add_f32_e32 v33, v33, v12
	v_fma_f32 v12, v18, s6, -v20
	v_fmamk_f32 v16, v10, 0xbf788fa5, v13
	v_add_f32_e32 v8, v12, v8
	v_mul_f32_e32 v12, 0x3eedf032, v22
	v_add_f32_e32 v16, v43, v16
	v_fma_f32 v13, v10, s7, -v13
	v_fmamk_f32 v20, v18, 0x3f62ad3f, v12
	v_add_f32_e32 v13, v43, v13
	v_add_f32_e32 v16, v20, v16
	v_fma_f32 v12, v18, s8, -v12
	v_sub_f32_e32 v20, v56, v49
	v_add_f32_e32 v13, v12, v13
	v_add_f32_e32 v12, v54, v55
	v_mul_f32_e32 v34, 0x3f6f5d39, v20
	v_fmamk_f32 v35, v12, 0xbeb58ec6, v34
	v_fma_f32 v34, v12, s13, -v34
	v_add_f32_e32 v0, v34, v0
	v_mul_f32_e32 v34, 0x3eedf032, v20
	v_add_f32_e32 v2, v35, v2
	v_fmamk_f32 v35, v12, 0x3f62ad3f, v34
	v_add_f32_e32 v35, v35, v6
	v_fma_f32 v6, v12, s8, -v34
	v_add_f32_e32 v4, v6, v4
	v_mul_f32_e32 v6, 0xbf52af12, v20
	v_fmamk_f32 v34, v12, 0x3f116cb1, v6
	v_fma_f32 v6, v12, s9, -v6
	v_add_f32_e32 v8, v6, v8
	v_mul_f32_e32 v6, 0xbf29c268, v20
	v_add_f32_e32 v33, v34, v33
	v_fmamk_f32 v34, v12, 0xbf3f9e67, v6
	v_add_f32_e32 v34, v34, v16
	v_fma_f32 v6, v12, s15, -v6
	v_sub_f32_e32 v16, v52, v51
	v_add_f32_e32 v13, v6, v13
	v_add_f32_e32 v6, v50, v53
	v_mul_f32_e32 v42, 0x3eedf032, v16
	v_fmamk_f32 v44, v6, 0x3f62ad3f, v42
	v_fma_f32 v42, v6, s8, -v42
	v_add_f32_e32 v0, v42, v0
	v_mul_f32_e32 v42, 0xbf7e222b, v16
	v_add_f32_e32 v2, v44, v2
	v_fmamk_f32 v44, v6, 0x3df6dbef, v42
	v_fma_f32 v42, v6, s6, -v42
	v_add_f32_e32 v42, v42, v4
	v_mul_f32_e32 v4, 0x3e750f2a, v16
	v_add_f32_e32 v35, v44, v35
	v_fmamk_f32 v44, v6, 0xbf788fa5, v4
	v_fma_f32 v4, v6, s7, -v4
	v_add_f32_e32 v67, v4, v8
	v_mul_f32_e32 v4, 0x3f52af12, v16
	v_fmamk_f32 v8, v6, 0x3f116cb1, v4
	v_add_f32_e32 v34, v8, v34
	v_fma_f32 v4, v6, s9, -v4
	v_sub_f32_e32 v8, v11, v48
	v_add_f32_e32 v33, v44, v33
	v_add_f32_e32 v13, v4, v13
	;; [unrolled: 1-line block ×3, first 2 shown]
	v_mul_f32_e32 v44, 0xbf52af12, v8
	v_fmamk_f32 v45, v4, 0x3f116cb1, v44
	v_add_f32_e32 v63, v45, v2
	v_fma_f32 v2, v4, s9, -v44
	v_add_f32_e32 v65, v2, v0
	v_mul_f32_e32 v0, 0x3e750f2a, v8
	v_fmamk_f32 v2, v4, 0xbf788fa5, v0
	v_fma_f32 v0, v4, s7, -v0
	v_add_f32_e32 v45, v0, v42
	v_mul_f32_e32 v0, 0x3eedf032, v8
	v_add_f32_e32 v44, v2, v35
	v_fmamk_f32 v2, v4, 0x3f62ad3f, v0
	v_fma_f32 v0, v4, s8, -v0
	v_add_f32_e32 v42, v0, v67
	v_mul_f32_e32 v0, 0xbf6f5d39, v8
	v_pk_mul_f32 v[108:109], v[14:15], s[24:25] op_sel_hi:[0,1]
	v_add_f32_e32 v35, v2, v33
	v_fmamk_f32 v2, v4, 0xbeb58ec6, v0
	v_fma_f32 v0, v4, s13, -v0
	v_pk_fma_f32 v[110:111], v[10:11], s[8:9], v[108:109] op_sel_hi:[0,1,1]
	v_add_f32_e32 v33, v0, v13
	v_add_f32_e32 v13, v43, v110
	;; [unrolled: 1-line block ×3, first 2 shown]
	v_pk_fma_f32 v[108:109], v[10:11], s[8:9], v[108:109] op_sel_hi:[0,1,1] neg_lo:[0,0,1] neg_hi:[0,0,1]
	v_mov_b32_e32 v10, v43
	v_pk_mul_f32 v[110:111], v[22:23], s[22:23] op_sel_hi:[0,1]
	v_pk_add_f32 v[108:109], v[10:11], v[108:109] op_sel_hi:[0,1]
	v_pk_fma_f32 v[112:113], v[18:19], s[12:13], v[110:111] op_sel_hi:[0,1,1]
	v_pk_fma_f32 v[110:111], v[18:19], s[12:13], v[110:111] op_sel_hi:[0,1,1] neg_lo:[0,0,1] neg_hi:[0,0,1]
	v_add_f32_e32 v10, v112, v13
	v_add_f32_e32 v13, v113, v14
	v_pk_add_f32 v[108:109], v[110:111], v[108:109]
	v_pk_mul_f32 v[110:111], v[20:21], s[16:17] op_sel_hi:[0,1]
	v_pk_fma_f32 v[112:113], v[12:13], s[6:7], v[110:111] op_sel_hi:[0,1,1]
	v_add_f32_e32 v14, v113, v13
	v_pk_fma_f32 v[12:13], v[12:13], s[6:7], v[110:111] op_sel_hi:[0,1,1] neg_lo:[0,0,1] neg_hi:[0,0,1]
	v_pk_add_f32 v[12:13], v[12:13], v[108:109]
	v_pk_mul_f32 v[108:109], v[16:17], s[20:21] op_sel_hi:[0,1]
	v_pk_fma_f32 v[110:111], v[6:7], s[14:15], v[108:109] op_sel_hi:[0,1,1]
	v_pk_fma_f32 v[108:109], v[6:7], s[14:15], v[108:109] op_sel_hi:[0,1,1] neg_lo:[0,0,1] neg_hi:[0,0,1]
	v_add_f32_e32 v10, v112, v10
	v_pk_add_f32 v[12:13], v[108:109], v[12:13]
	s_mov_b32 s20, s15
	s_mov_b32 s21, s6
	v_pk_mul_f32 v[108:109], v[8:9], s[18:19] op_sel_hi:[0,1]
	v_add_f32_e32 v34, v2, v34
	v_sub_f32_e32 v2, v3, v7
	v_add_f32_e32 v10, v110, v10
	v_add_f32_e32 v14, v111, v14
	v_pk_fma_f32 v[110:111], v[4:5], s[20:21], v[108:109] op_sel_hi:[0,1,1]
	v_pk_fma_f32 v[108:109], v[4:5], s[20:21], v[108:109] op_sel_hi:[0,1,1] neg_lo:[0,0,1] neg_hi:[0,0,1]
	v_add_f32_e32 v0, v1, v5
	v_pk_add_f32 v[12:13], v[108:109], v[12:13]
	s_mov_b32 s18, s7
	s_mov_b32 s19, s8
	v_pk_mul_f32 v[108:109], v[2:3], s[0:1] op_sel_hi:[0,1]
	v_add_f32_e32 v6, v110, v10
	v_add_f32_e32 v8, v111, v14
	v_pk_fma_f32 v[110:111], v[0:1], s[18:19], v[108:109] op_sel_hi:[0,1,1]
	v_add_f32_e32 v4, v110, v6
	v_add_f32_e32 v6, v111, v8
	v_mul_f32_e32 v8, 0xbf29c268, v2
	v_mul_f32_e32 v14, 0x3f52af12, v2
	;; [unrolled: 1-line block ×4, first 2 shown]
	v_pk_fma_f32 v[108:109], v[0:1], s[18:19], v[108:109] op_sel_hi:[0,1,1] neg_lo:[0,0,1] neg_hi:[0,0,1]
	v_fmamk_f32 v10, v0, 0xbf3f9e67, v8
	v_fma_f32 v8, v0, s15, -v8
	v_fmamk_f32 v16, v0, 0x3f116cb1, v14
	v_fma_f32 v14, v0, s9, -v14
	;; [unrolled: 2-line block ×4, first 2 shown]
	v_add_f32_e32 v33, v0, v33
	v_mov_b32_e32 v0, 0x548
	v_cmp_lt_u32_e64 s[0:1], 25, v88
	v_lshlrev_b32_e32 v2, 2, v104
	v_pk_add_f32 v[12:13], v[108:109], v[12:13]
	v_cndmask_b32_e64 v0, 0, v0, s[0:1]
	v_add3_u32 v0, 0, v0, v2
	v_add_u32_e32 v2, 0x400, v0
	ds_write2_b32 v0, v29, v32 offset1:26
	ds_write2_b32 v0, v30, v31 offset0:52 offset1:78
	ds_write2_b32 v0, v21, v24 offset0:104 offset1:130
	;; [unrolled: 1-line block ×5, first 2 shown]
	ds_write_b32 v0, v15 offset:1248
	v_mov_b32_e32 v15, 2
	v_mul_u32_u24_e32 v2, 0x548, v96
	v_lshlrev_b32_sdwa v15, v15, v97 dst_sel:DWORD dst_unused:UNUSED_PAD src0_sel:DWORD src1_sel:BYTE_0
	v_add3_u32 v2, 0, v2, v15
	v_add_f32_e32 v10, v10, v63
	v_add_f32_e32 v8, v8, v65
	v_add_f32_e32 v16, v16, v44
	v_add_f32_e32 v14, v14, v45
	v_add_f32_e32 v20, v20, v35
	v_add_f32_e32 v18, v18, v42
	v_add_f32_e32 v22, v22, v34
	ds_write2_b32 v2, v28, v4 offset1:26
	ds_write2_b32 v2, v6, v10 offset0:52 offset1:78
	ds_write2_b32 v2, v16, v20 offset0:104 offset1:130
	;; [unrolled: 1-line block ×4, first 2 shown]
	v_add_u32_e32 v4, 0x400, v2
	ds_write2_b32 v4, v8, v13 offset0:4 offset1:30
	ds_write_b32 v2, v12 offset:1248
	v_add_u32_e32 v4, 0xe00, v84
	s_waitcnt lgkmcnt(0)
	; wave barrier
	s_waitcnt lgkmcnt(0)
	ds_read2_b32 v[32:33], v84 offset1:52
	ds_read2_b32 v[34:35], v80 offset0:82 offset1:134
	ds_read2_b32 v[42:43], v77 offset0:164 offset1:216
	;; [unrolled: 1-line block ×11, first 2 shown]
	s_and_saveexec_b64 s[6:7], s[0:1]
	s_xor_b64 s[6:7], exec, s[6:7]
	s_or_saveexec_b64 s[6:7], s[6:7]
                                        ; implicit-def: $vgpr14
	s_xor_b64 exec, exec, s[6:7]
	s_cbranch_execz .LBB0_15
; %bb.14:
	ds_read_b32 v13, v84 offset:1248
	ds_read_b32 v12, v84 offset:2600
	;; [unrolled: 1-line block ×4, first 2 shown]
.LBB0_15:
	s_or_b64 exec, exec, s[6:7]
	v_add_f32_e32 v4, v40, v106
	v_add_f32_e32 v4, v4, v103
	;; [unrolled: 1-line block ×13, first 2 shown]
	v_sub_f32_e32 v6, v87, v107
	v_mul_f32_e32 v8, 0x3f62ad3f, v4
	v_mul_f32_e32 v65, 0x3f116cb1, v4
	;; [unrolled: 1-line block ×6, first 2 shown]
	v_fmamk_f32 v10, v6, 0x3eedf032, v8
	v_fmac_f32_e32 v8, 0xbeedf032, v6
	v_fmamk_f32 v67, v6, 0x3f52af12, v65
	v_fmac_f32_e32 v65, 0xbf52af12, v6
	;; [unrolled: 2-line block ×6, first 2 shown]
	v_add_f32_e32 v6, v103, v70
	v_add_f32_e32 v10, v40, v10
	;; [unrolled: 1-line block ×13, first 2 shown]
	v_sub_f32_e32 v40, v102, v105
	v_mul_f32_e32 v70, 0x3f116cb1, v6
	v_fmamk_f32 v78, v40, 0x3f52af12, v70
	v_fmac_f32_e32 v70, 0xbf52af12, v40
	v_add_f32_e32 v8, v70, v8
	v_mul_f32_e32 v70, 0xbeb58ec6, v6
	v_add_f32_e32 v10, v78, v10
	v_fmamk_f32 v78, v40, 0x3f6f5d39, v70
	v_fmac_f32_e32 v70, 0xbf6f5d39, v40
	v_add_f32_e32 v65, v70, v65
	v_mul_f32_e32 v70, 0xbf788fa5, v6
	v_add_f32_e32 v67, v78, v67
	;; [unrolled: 5-line block ×4, first 2 shown]
	v_fmamk_f32 v78, v40, 0xbf7e222b, v71
	v_fmac_f32_e32 v71, 0x3f7e222b, v40
	v_mul_f32_e32 v6, 0x3f62ad3f, v6
	v_add_f32_e32 v71, v71, v75
	v_fmamk_f32 v75, v40, 0xbeedf032, v6
	v_fmac_f32_e32 v6, 0x3eedf032, v40
	v_add_f32_e32 v4, v6, v4
	v_add_f32_e32 v6, v100, v72
	v_sub_f32_e32 v40, v99, v101
	v_mul_f32_e32 v72, 0x3df6dbef, v6
	v_add_f32_e32 v75, v75, v77
	v_fmamk_f32 v77, v40, 0x3f7e222b, v72
	v_fmac_f32_e32 v72, 0xbf7e222b, v40
	v_add_f32_e32 v8, v72, v8
	v_mul_f32_e32 v72, 0xbf788fa5, v6
	v_add_f32_e32 v10, v77, v10
	v_fmamk_f32 v77, v40, 0x3e750f2a, v72
	v_fmac_f32_e32 v72, 0xbe750f2a, v40
	v_add_f32_e32 v65, v72, v65
	;; [unrolled: 5-line block ×4, first 2 shown]
	v_mul_f32_e32 v72, 0x3f116cb1, v6
	v_add_f32_e32 v73, v77, v73
	v_fmamk_f32 v77, v40, 0x3f52af12, v72
	v_fmac_f32_e32 v72, 0xbf52af12, v40
	v_mul_f32_e32 v6, 0xbf3f9e67, v6
	v_add_f32_e32 v71, v72, v71
	v_fmamk_f32 v72, v40, 0x3f29c268, v6
	v_fmac_f32_e32 v6, 0xbf29c268, v40
	v_add_f32_e32 v4, v6, v4
	v_add_f32_e32 v6, v95, v74
	v_sub_f32_e32 v40, v94, v98
	v_mul_f32_e32 v74, 0xbeb58ec6, v6
	v_add_f32_e32 v72, v72, v75
	v_fmamk_f32 v75, v40, 0x3f6f5d39, v74
	v_fmac_f32_e32 v74, 0xbf6f5d39, v40
	v_add_f32_e32 v8, v74, v8
	v_mul_f32_e32 v74, 0xbf3f9e67, v6
	v_add_f32_e32 v10, v75, v10
	v_fmamk_f32 v75, v40, 0xbf29c268, v74
	v_fmac_f32_e32 v74, 0x3f29c268, v40
	v_add_f32_e32 v65, v74, v65
	;; [unrolled: 5-line block ×4, first 2 shown]
	v_mul_f32_e32 v74, 0xbf788fa5, v6
	v_add_f32_e32 v73, v75, v73
	v_fmamk_f32 v75, v40, 0xbe750f2a, v74
	v_fmac_f32_e32 v74, 0x3e750f2a, v40
	v_mul_f32_e32 v6, 0x3f116cb1, v6
	v_add_f32_e32 v71, v74, v71
	v_fmamk_f32 v74, v40, 0xbf52af12, v6
	v_fmac_f32_e32 v6, 0x3f52af12, v40
	v_add_f32_e32 v76, v78, v76
	v_add_f32_e32 v4, v6, v4
	;; [unrolled: 1-line block ×5, first 2 shown]
	v_sub_f32_e32 v40, v90, v92
	v_mul_f32_e32 v74, 0xbf3f9e67, v6
	v_add_f32_e32 v75, v75, v76
	v_fmamk_f32 v76, v40, 0x3f29c268, v74
	v_fmac_f32_e32 v74, 0xbf29c268, v40
	v_add_f32_e32 v8, v74, v8
	v_mul_f32_e32 v74, 0x3df6dbef, v6
	v_add_f32_e32 v10, v76, v10
	v_fmamk_f32 v76, v40, 0xbf7e222b, v74
	v_fmac_f32_e32 v74, 0x3f7e222b, v40
	v_add_f32_e32 v65, v74, v65
	;; [unrolled: 5-line block ×4, first 2 shown]
	v_mul_f32_e32 v74, 0x3f62ad3f, v6
	v_add_f32_e32 v73, v76, v73
	v_fmamk_f32 v76, v40, 0xbeedf032, v74
	v_fmac_f32_e32 v74, 0x3eedf032, v40
	v_mul_f32_e32 v6, 0xbeb58ec6, v6
	v_add_f32_e32 v71, v74, v71
	v_fmamk_f32 v74, v40, 0x3f6f5d39, v6
	v_fmac_f32_e32 v6, 0xbf6f5d39, v40
	v_add_f32_e32 v4, v6, v4
	v_add_f32_e32 v6, v81, v86
	v_sub_f32_e32 v40, v66, v85
	v_mul_f32_e32 v66, 0xbf788fa5, v6
	v_add_f32_e32 v72, v74, v72
	v_fmamk_f32 v74, v40, 0x3e750f2a, v66
	v_fmac_f32_e32 v66, 0xbe750f2a, v40
	v_add_f32_e32 v66, v66, v8
	v_mul_f32_e32 v8, 0x3f62ad3f, v6
	v_add_f32_e32 v74, v74, v10
	v_fmamk_f32 v10, v40, 0xbeedf032, v8
	v_fmac_f32_e32 v8, 0x3eedf032, v40
	v_add_f32_e32 v65, v8, v65
	;; [unrolled: 5-line block ×4, first 2 shown]
	v_mul_f32_e32 v8, 0xbeb58ec6, v6
	v_add_f32_e32 v73, v10, v73
	v_fmamk_f32 v10, v40, 0x3f6f5d39, v8
	v_fmac_f32_e32 v8, 0xbf6f5d39, v40
	v_mul_f32_e32 v6, 0x3df6dbef, v6
	v_add_f32_e32 v71, v8, v71
	v_fmamk_f32 v8, v40, 0xbf7e222b, v6
	v_fmac_f32_e32 v6, 0x3f7e222b, v40
	v_add_f32_e32 v75, v76, v75
	v_add_f32_e32 v76, v6, v4
	;; [unrolled: 1-line block ×16, first 2 shown]
	v_sub_f32_e32 v6, v62, v59
	v_mul_f32_e32 v8, 0x3df6dbef, v4
	v_add_f32_e32 v75, v10, v75
	v_fmamk_f32 v10, v6, 0x3f7e222b, v8
	v_fmac_f32_e32 v8, 0xbf7e222b, v6
	v_add_f32_e32 v59, v41, v8
	v_mul_f32_e32 v8, 0xbeb58ec6, v4
	v_add_f32_e32 v40, v41, v10
	v_fmamk_f32 v10, v6, 0x3f6f5d39, v8
	v_fmac_f32_e32 v8, 0xbf6f5d39, v6
	v_add_f32_e32 v62, v41, v8
	;; [unrolled: 5-line block ×4, first 2 shown]
	v_add_f32_e32 v8, v60, v47
	v_add_f32_e32 v79, v41, v10
	v_sub_f32_e32 v10, v58, v57
	v_mul_f32_e32 v47, 0xbf788fa5, v8
	v_fmamk_f32 v57, v10, 0x3e750f2a, v47
	v_add_f32_e32 v57, v57, v40
	v_mul_f32_e32 v40, 0xbf3f9e67, v8
	v_fmac_f32_e32 v47, 0xbe750f2a, v10
	v_fmamk_f32 v58, v10, 0xbf29c268, v40
	v_fmac_f32_e32 v40, 0x3f29c268, v10
	v_add_f32_e32 v47, v47, v59
	v_add_f32_e32 v59, v40, v62
	v_mul_f32_e32 v40, 0x3df6dbef, v8
	v_fmamk_f32 v60, v10, 0xbf7e222b, v40
	v_fmac_f32_e32 v40, 0x3f7e222b, v10
	v_add_f32_e32 v58, v58, v61
	v_add_f32_e32 v61, v40, v78
	v_mul_f32_e32 v40, 0x3f62ad3f, v8
	v_fmamk_f32 v62, v10, 0xbeedf032, v40
	v_fmac_f32_e32 v40, 0x3eedf032, v10
	v_add_f32_e32 v60, v60, v64
	v_add_f32_e32 v64, v40, v80
	;; [unrolled: 1-line block ×3, first 2 shown]
	v_sub_f32_e32 v54, v54, v55
	v_mul_f32_e32 v49, 0xbeb58ec6, v40
	v_add_f32_e32 v52, v52, v51
	v_fmamk_f32 v55, v54, 0xbf6f5d39, v49
	v_fmac_f32_e32 v49, 0x3f6f5d39, v54
	v_sub_f32_e32 v50, v50, v53
	v_mul_f32_e32 v51, 0x3f62ad3f, v52
	v_add_f32_e32 v48, v11, v48
	v_add_f32_e32 v47, v49, v47
	v_mul_f32_e32 v49, 0x3f62ad3f, v40
	v_fmamk_f32 v53, v50, 0xbeedf032, v51
	v_fmac_f32_e32 v51, 0x3eedf032, v50
	v_sub_f32_e32 v46, v9, v46
	v_mul_f32_e32 v9, 0x3f116cb1, v48
	v_add_f32_e32 v55, v55, v57
	v_fmamk_f32 v56, v54, 0xbeedf032, v49
	v_fmac_f32_e32 v49, 0x3eedf032, v54
	v_add_f32_e32 v47, v51, v47
	v_mul_f32_e32 v51, 0x3df6dbef, v52
	v_fmamk_f32 v11, v46, 0x3f52af12, v9
	v_fmac_f32_e32 v9, 0xbf52af12, v46
	v_add_f32_e32 v49, v49, v59
	v_mul_f32_e32 v57, 0x3f116cb1, v40
	v_add_f32_e32 v53, v53, v55
	v_fmamk_f32 v55, v50, 0x3f7e222b, v51
	v_fmac_f32_e32 v51, 0xbf7e222b, v50
	v_add_f32_e32 v47, v9, v47
	v_mul_f32_e32 v9, 0xbf788fa5, v48
	v_add_f32_e32 v56, v56, v58
	;; [unrolled: 5-line block ×5, first 2 shown]
	v_add_f32_e32 v58, v58, v60
	v_fmamk_f32 v60, v54, 0x3f29c268, v59
	v_add_f32_e32 v51, v51, v57
	v_mul_f32_e32 v57, 0x3f116cb1, v52
	v_add_f32_e32 v53, v53, v55
	v_fmamk_f32 v55, v46, 0xbeedf032, v9
	v_fmac_f32_e32 v9, 0x3eedf032, v46
	v_add_f32_e32 v60, v60, v62
	v_fmac_f32_e32 v59, 0xbf29c268, v54
	v_add_f32_e32 v56, v56, v58
	v_fmamk_f32 v58, v50, 0xbf52af12, v57
	v_add_f32_e32 v51, v9, v51
	v_mul_f32_e32 v9, 0xbeb58ec6, v48
	s_mov_b32 s18, 0xbeedf032
	v_add_f32_e32 v59, v59, v64
	v_add_f32_e32 v58, v58, v60
	v_fmac_f32_e32 v57, 0x3f52af12, v50
	v_add_f32_e32 v55, v55, v56
	v_fmamk_f32 v56, v46, 0x3f6f5d39, v9
	s_mov_b32 s19, 0xbf52af12
	v_add_f32_e32 v57, v57, v59
	v_add_f32_e32 v59, v56, v58
	v_sub_f32_e32 v58, v1, v5
	v_pk_mul_f32 v[4:5], v[4:5], s[8:9] op_sel_hi:[0,1]
	s_mov_b32 s23, 0xbeb58ec6
	v_fmac_f32_e32 v9, 0xbf6f5d39, v46
	v_pk_fma_f32 v[60:61], v[6:7], s[18:19], v[4:5] op_sel_hi:[0,1,1] neg_lo:[1,0,0] neg_hi:[1,0,0]
	v_pk_fma_f32 v[4:5], v[6:7], s[18:19], v[4:5] op_sel_hi:[0,1,1]
	v_mov_b32_e32 v6, v41
	s_mov_b32 s22, s9
	s_mov_b32 s12, 0x3df6dbef
	s_mov_b32 s25, 0xbf6f5d39
	v_add_f32_e32 v56, v3, v7
	v_pk_add_f32 v[4:5], v[6:7], v[4:5] op_sel_hi:[0,1]
	v_pk_mul_f32 v[6:7], v[8:9], s[22:23] op_sel_hi:[0,1]
	s_mov_b32 s24, s19
	s_mov_b32 s13, 0xbf788fa5
	;; [unrolled: 1-line block ×3, first 2 shown]
	v_add_f32_e32 v57, v9, v57
	v_pk_fma_f32 v[8:9], v[10:11], s[24:25], v[6:7] op_sel_hi:[0,1,1] neg_lo:[1,0,0] neg_hi:[1,0,0]
	v_pk_fma_f32 v[6:7], v[10:11], s[24:25], v[6:7] op_sel_hi:[0,1,1]
	s_mov_b32 s15, 0xbe750f2a
	v_add_f32_e32 v1, v41, v60
	v_add_f32_e32 v3, v41, v61
	v_pk_add_f32 v[4:5], v[6:7], v[4:5]
	v_pk_mul_f32 v[6:7], v[40:41], s[12:13] op_sel_hi:[0,1]
	s_mov_b32 s21, 0xbf3f9e67
	v_add_f32_e32 v1, v8, v1
	v_add_f32_e32 v3, v9, v3
	v_pk_fma_f32 v[8:9], v[54:55], s[14:15], v[6:7] op_sel_hi:[0,1,1] neg_lo:[1,0,0] neg_hi:[1,0,0]
	v_pk_fma_f32 v[6:7], v[54:55], s[14:15], v[6:7] op_sel_hi:[0,1,1]
	s_mov_b32 s20, s23
	s_mov_b32 s27, 0x3f29c268
	v_pk_add_f32 v[4:5], v[6:7], v[4:5]
	v_pk_mul_f32 v[6:7], v[52:53], s[20:21] op_sel_hi:[0,1]
	s_mov_b32 s26, s25
	s_mov_b32 s16, 0xbf29c268
	v_add_f32_e32 v1, v8, v1
	v_add_f32_e32 v3, v9, v3
	v_pk_fma_f32 v[8:9], v[50:51], s[26:27], v[6:7] op_sel_hi:[0,1,1] neg_lo:[1,0,0] neg_hi:[1,0,0]
	v_pk_fma_f32 v[6:7], v[50:51], s[26:27], v[6:7] op_sel_hi:[0,1,1]
	s_mov_b32 s18, s21
	s_mov_b32 s19, s12
	s_mov_b32 s17, 0x3f7e222b
	v_pk_add_f32 v[4:5], v[6:7], v[4:5]
	v_pk_mul_f32 v[6:7], v[48:49], s[18:19] op_sel_hi:[0,1]
	v_add_f32_e32 v1, v8, v1
	v_add_f32_e32 v3, v9, v3
	v_pk_fma_f32 v[8:9], v[46:47], s[16:17], v[6:7] op_sel_hi:[0,1,1] neg_lo:[1,0,0] neg_hi:[1,0,0]
	v_pk_fma_f32 v[6:7], v[46:47], s[16:17], v[6:7] op_sel_hi:[0,1,1]
	s_mov_b32 s12, s13
	s_mov_b32 s13, s8
	;; [unrolled: 1-line block ×3, first 2 shown]
	v_pk_add_f32 v[4:5], v[6:7], v[4:5]
	v_pk_mul_f32 v[6:7], v[56:57], s[12:13] op_sel_hi:[0,1]
	s_mov_b32 s6, s15
	v_add_f32_e32 v1, v8, v1
	v_add_f32_e32 v3, v9, v3
	v_pk_fma_f32 v[8:9], v[58:59], s[6:7], v[6:7] op_sel_hi:[0,1,1] neg_lo:[1,0,0] neg_hi:[1,0,0]
	v_pk_fma_f32 v[6:7], v[58:59], s[6:7], v[6:7] op_sel_hi:[0,1,1]
	v_pk_add_f32 v[40:41], v[6:7], v[4:5]
	v_mul_f32_e32 v4, 0xbf3f9e67, v56
	v_add_f32_e32 v1, v8, v1
	v_fmamk_f32 v5, v58, 0x3f29c268, v4
	v_mul_f32_e32 v6, 0x3f116cb1, v56
	v_mul_f32_e32 v8, 0xbeb58ec6, v56
	v_mul_f32_e32 v10, 0x3df6dbef, v56
	v_add_f32_e32 v3, v9, v3
	v_add_f32_e32 v5, v5, v11
	v_fmac_f32_e32 v4, 0xbf29c268, v58
	v_fmamk_f32 v7, v58, 0xbf52af12, v6
	v_fmac_f32_e32 v6, 0x3f52af12, v58
	v_fmamk_f32 v9, v58, 0x3f6f5d39, v8
	;; [unrolled: 2-line block ×3, first 2 shown]
	v_fmac_f32_e32 v10, 0x3f7e222b, v58
	v_add_u32_e32 v46, 0x400, v0
	v_add_f32_e32 v4, v4, v47
	v_add_f32_e32 v7, v7, v53
	v_add_f32_e32 v6, v6, v49
	v_add_f32_e32 v9, v9, v55
	v_add_f32_e32 v8, v8, v51
	v_add_f32_e32 v11, v11, v59
	v_add_f32_e32 v10, v10, v57
	s_waitcnt lgkmcnt(0)
	; wave barrier
	s_waitcnt lgkmcnt(0)
	ds_write2_b32 v0, v63, v74 offset1:26
	ds_write2_b32 v0, v67, v69 offset0:52 offset1:78
	ds_write2_b32 v0, v73, v75 offset0:104 offset1:130
	;; [unrolled: 1-line block ×5, first 2 shown]
	ds_write_b32 v0, v66 offset:1248
	ds_write2_b32 v2, v77, v1 offset1:26
	ds_write2_b32 v2, v3, v5 offset0:52 offset1:78
	ds_write2_b32 v2, v7, v9 offset0:104 offset1:130
	;; [unrolled: 1-line block ×4, first 2 shown]
	v_add_u32_e32 v0, 0x400, v2
	ds_write2_b32 v0, v4, v41 offset0:4 offset1:30
	ds_write_b32 v2, v40 offset:1248
	v_add_u32_e32 v0, 0x400, v84
	v_add_u32_e32 v1, 0x800, v84
	;; [unrolled: 1-line block ×3, first 2 shown]
	s_waitcnt lgkmcnt(0)
	; wave barrier
	s_waitcnt lgkmcnt(0)
	ds_read2_b32 v[72:73], v84 offset1:52
	ds_read2_b32 v[76:77], v0 offset0:82 offset1:134
	ds_read2_b32 v[78:79], v1 offset0:164 offset1:216
	;; [unrolled: 1-line block ×5, first 2 shown]
	v_add_u32_e32 v0, 0xc00, v84
	v_add_u32_e32 v2, 0x1000, v84
	;; [unrolled: 1-line block ×3, first 2 shown]
	ds_read2_b32 v[66:67], v0 offset0:12 offset1:64
	ds_read2_b32 v[64:65], v2 offset0:94 offset1:146
	ds_read2_b32 v[50:51], v3 offset0:80 offset1:132
	ds_read2_b32 v[52:53], v1 offset0:34 offset1:86
	ds_read2_b32 v[54:55], v0 offset0:116 offset1:168
	ds_read2_b32 v[56:57], v2 offset0:198 offset1:250
	s_and_saveexec_b64 s[6:7], s[0:1]
	s_xor_b64 s[0:1], exec, s[6:7]
	s_cbranch_execnz .LBB0_19
; %bb.16:
	s_or_saveexec_b64 s[0:1], s[0:1]
                                        ; implicit-def: $vgpr46
	s_xor_b64 exec, exec, s[0:1]
	s_cbranch_execnz .LBB0_20
.LBB0_17:
	s_or_b64 exec, exec, s[0:1]
	s_and_saveexec_b64 s[0:1], vcc
	s_cbranch_execnz .LBB0_21
.LBB0_18:
	s_endpgm
.LBB0_19:
                                        ; implicit-def: $vgpr84
                                        ; implicit-def: $vgpr83
	s_or_saveexec_b64 s[0:1], s[0:1]
                                        ; implicit-def: $vgpr46
	s_xor_b64 exec, exec, s[0:1]
	s_cbranch_execz .LBB0_17
.LBB0_20:
	ds_read_b32 v41, v84 offset:1248
	ds_read_b32 v40, v84 offset:2600
	;; [unrolled: 1-line block ×4, first 2 shown]
	v_mov_b32_e32 v89, v83
	s_or_b64 exec, exec, s[0:1]
	s_and_saveexec_b64 s[0:1], vcc
	s_cbranch_execz .LBB0_18
.LBB0_21:
	v_mul_u32_u24_e32 v0, 3, v82
	v_lshlrev_b32_e32 v4, 3, v0
	global_load_dwordx2 v[58:59], v4, s[4:5] offset:2704
	global_load_dwordx4 v[0:3], v4, s[4:5] offset:2688
	v_mov_b32_e32 v4, 0xffffff64
	v_mad_u32_u24 v48, v82, 3, v4
	v_mul_u32_u24_e32 v4, 3, v88
	v_lshlrev_b32_e32 v4, 3, v4
	global_load_dwordx2 v[102:103], v4, s[4:5] offset:2704
	global_load_dwordx4 v[90:93], v4, s[4:5] offset:2688
	v_mov_b32_e32 v49, 0
	v_lshl_add_u64 v[8:9], v[48:49], 3, s[4:5]
	global_load_dwordx4 v[4:7], v[8:9], off offset:2688
	global_load_dwordx2 v[70:71], v[8:9], off offset:2704
	v_mov_b32_e32 v8, 0xfffffec8
	v_mad_u32_u24 v48, v82, 3, v8
	v_mul_lo_u32 v98, s3, v38
	v_mad_u64_u32 v[74:75], s[0:1], s2, v38, 0
	v_mov_b32_e32 v38, 0xfffffe2c
	v_lshl_add_u64 v[68:69], v[48:49], 3, s[4:5]
	v_mul_lo_u32 v99, s2, v39
	v_mov_b32_e32 v39, 0xfffffd90
	v_mad_u32_u24 v48, v82, 3, v38
	v_lshl_add_u64 v[86:87], v[48:49], 3, s[4:5]
	v_mad_u32_u24 v48, v82, 3, v39
	v_lshl_add_u64 v[38:39], v[48:49], 3, s[4:5]
	global_load_dwordx4 v[8:11], v[68:69], off offset:2688
	global_load_dwordx2 v[84:85], v[68:69], off offset:2704
	global_load_dwordx4 v[94:97], v[38:39], off offset:2688
	global_load_dwordx2 v[104:105], v[38:39], off offset:2704
	v_add3_u32 v75, v75, v99, v98
	global_load_dwordx4 v[98:101], v[86:87], off offset:2688
	global_load_dwordx2 v[112:113], v[86:87], off offset:2704
	s_mov_b32 s1, 0x60f25deb
	v_mov_b32_e32 v110, v32
	v_mul_hi_u32 v32, v88, s1
	v_lshrrev_b32_e32 v32, 7, v32
	v_mul_u32_u24_e32 v32, 0x152, v32
	s_waitcnt lgkmcnt(11)
	v_mov_b32_e32 v111, v72
	v_sub_u32_e32 v32, v88, v32
	v_lshlrev_b32_e32 v48, 3, v32
	v_add_u32_e32 v32, 52, v88
	v_lshl_add_u64 v[74:75], v[74:75], 3, s[10:11]
	v_lshl_add_u64 v[36:37], v[36:37], 3, v[74:75]
	s_movk_i32 s2, 0x1000
	v_lshl_add_u64 v[114:115], v[36:37], 0, v[48:49]
	v_mov_b32_e32 v108, v33
	v_mov_b32_e32 v109, v73
	;; [unrolled: 1-line block ×3, first 2 shown]
	s_waitcnt lgkmcnt(7)
	v_mov_b32_e32 v107, v60
	v_mov_b32_e32 v82, v25
	;; [unrolled: 1-line block ×4, first 2 shown]
	s_waitcnt lgkmcnt(3)
	v_mov_b32_e32 v69, v50
	v_mov_b32_e32 v38, v17
	;; [unrolled: 1-line block ×3, first 2 shown]
	s_movk_i32 s0, 0x152
	s_waitcnt vmcnt(11)
	v_mov_b32_e32 v75, v58
	s_waitcnt vmcnt(10)
	v_mov_b32_e32 v74, v3
	s_waitcnt vmcnt(9)
	v_pk_mul_f32 v[120:121], v[80:81], v[102:103] op_sel_hi:[0,1]
	s_waitcnt vmcnt(8)
	v_pk_mul_f32 v[116:117], v[78:79], v[92:93] op_sel_hi:[0,1]
	v_pk_mul_f32 v[118:119], v[76:77], v[90:91] op_sel_hi:[0,1]
	v_pk_fma_f32 v[122:123], v[42:43], v[92:93], v[116:117] op_sel:[0,0,1] op_sel_hi:[1,1,0]
	v_pk_fma_f32 v[92:93], v[42:43], v[92:93], v[116:117] op_sel:[0,0,1] op_sel_hi:[0,1,0] neg_lo:[1,0,0] neg_hi:[1,0,0]
	v_pk_fma_f32 v[116:117], v[34:35], v[90:91], v[118:119] op_sel:[0,0,1] op_sel_hi:[1,1,0]
	v_pk_fma_f32 v[90:91], v[34:35], v[90:91], v[118:119] op_sel:[0,0,1] op_sel_hi:[0,1,0] neg_lo:[1,0,0] neg_hi:[1,0,0]
	;; [unrolled: 2-line block ×3, first 2 shown]
	v_mov_b32_e32 v123, v93
	v_mov_b32_e32 v117, v91
	;; [unrolled: 1-line block ×3, first 2 shown]
	v_pk_add_f32 v[90:91], v[110:111], v[122:123] neg_lo:[0,1] neg_hi:[0,1]
	v_pk_add_f32 v[92:93], v[116:117], v[118:119] neg_lo:[0,1] neg_hi:[0,1]
	v_pk_fma_f32 v[102:103], v[110:111], 2.0, v[90:91] op_sel_hi:[1,0,1] neg_lo:[0,0,1] neg_hi:[0,0,1]
	v_pk_fma_f32 v[110:111], v[116:117], 2.0, v[92:93] op_sel_hi:[1,0,1] neg_lo:[0,0,1] neg_hi:[0,0,1]
	v_pk_add_f32 v[116:117], v[90:91], v[92:93] op_sel:[0,1] op_sel_hi:[1,0]
	v_pk_add_f32 v[92:93], v[90:91], v[92:93] op_sel:[0,1] op_sel_hi:[1,0] neg_lo:[0,1] neg_hi:[0,1]
	v_mul_hi_u32 v34, v32, s1
	v_pk_add_f32 v[110:111], v[102:103], v[110:111] neg_lo:[0,1] neg_hi:[0,1]
	v_mov_b32_e32 v117, v93
	v_lshrrev_b32_e32 v34, 7, v34
	v_pk_fma_f32 v[92:93], v[102:103], 2.0, v[110:111] op_sel_hi:[1,0,1] neg_lo:[0,0,1] neg_hi:[0,0,1]
	v_pk_fma_f32 v[90:91], v[90:91], 2.0, v[116:117] op_sel_hi:[1,0,1] neg_lo:[0,0,1] neg_hi:[0,0,1]
	v_mul_u32_u24_e32 v42, 0x152, v34
	global_store_dwordx2 v[114:115], v[92:93], off
	global_store_dwordx2 v[114:115], v[90:91], off offset:2704
	v_add_co_u32_e32 v90, vcc, s2, v114
	v_sub_u32_e32 v32, v32, v42
	s_movk_i32 s2, 0x548
	v_mad_u32_u24 v48, v34, s2, v32
	v_mov_b32_e32 v78, v81
	s_waitcnt vmcnt(4)
	v_mov_b32_e32 v80, v104
	v_mov_b32_e32 v81, v96
	;; [unrolled: 1-line block ×5, first 2 shown]
	v_pk_mul_f32 v[44:45], v[42:43], v[96:97]
	v_pk_mul_f32 v[42:43], v[42:43], v[80:81]
	v_pk_mul_f32 v[76:77], v[32:33], v[94:95] op_sel_hi:[0,1]
	v_mov_b32_e32 v32, v35
	v_pk_fma_f32 v[44:45], v[78:79], v[80:81], v[44:45] neg_lo:[0,0,1] neg_hi:[0,0,1]
	v_pk_fma_f32 v[42:43], v[78:79], v[96:97], v[42:43]
	v_pk_fma_f32 v[78:79], v[32:33], v[94:95], v[76:77] op_sel:[0,0,1] op_sel_hi:[1,1,0]
	v_pk_fma_f32 v[34:35], v[32:33], v[94:95], v[76:77] op_sel:[0,0,1] op_sel_hi:[0,1,0] neg_lo:[1,0,0] neg_hi:[1,0,0]
	v_mov_b32_e32 v72, v35
	v_mov_b32_e32 v32, v78
	;; [unrolled: 1-line block ×3, first 2 shown]
	v_pk_add_f32 v[34:35], v[72:73], v[44:45] neg_lo:[0,1] neg_hi:[0,1]
	v_pk_add_f32 v[32:33], v[32:33], v[42:43] neg_lo:[0,1] neg_hi:[0,1]
	s_waitcnt vmcnt(3)
	v_mov_b32_e32 v77, v100
	v_pk_add_f32 v[42:43], v[34:35], v[32:33] op_sel:[0,1] op_sel_hi:[1,0]
	v_pk_add_f32 v[44:45], v[34:35], v[32:33] op_sel:[0,1] op_sel_hi:[1,0] neg_lo:[0,1] neg_hi:[0,1]
	s_waitcnt vmcnt(2)
	v_mov_b32_e32 v100, v113
	v_mov_b32_e32 v43, v45
	;; [unrolled: 1-line block ×5, first 2 shown]
	v_pk_fma_f32 v[72:73], v[108:109], 2.0, v[44:45] op_sel_hi:[1,0,1] neg_lo:[0,0,1] neg_hi:[0,0,1]
	v_pk_fma_f32 v[32:33], v[78:79], 2.0, v[32:33] op_sel_hi:[1,0,1] neg_lo:[0,0,1] neg_hi:[0,0,1]
	v_mov_b32_e32 v78, v28
	v_pk_add_f32 v[32:33], v[72:73], v[32:33] neg_lo:[0,1] neg_hi:[0,1]
	v_mov_b32_e32 v79, v30
	v_pk_fma_f32 v[34:35], v[72:73], 2.0, v[32:33] op_sel_hi:[1,0,1] neg_lo:[0,0,1] neg_hi:[0,0,1]
	v_mov_b32_e32 v72, v64
	v_mov_b32_e32 v73, v66
	;; [unrolled: 1-line block ×3, first 2 shown]
	v_pk_mul_f32 v[80:81], v[78:79], v[100:101]
	v_addc_co_u32_e32 v91, vcc, 0, v115, vcc
	v_pk_fma_f32 v[80:81], v[72:73], v[76:77], v[80:81] neg_lo:[0,0,1] neg_hi:[0,0,1]
	v_pk_mul_f32 v[76:77], v[78:79], v[76:77]
	global_store_dwordx2 v[90:91], v[110:111], off offset:1312
	global_store_dwordx2 v[90:91], v[116:117], off offset:4016
	v_pk_fma_f32 v[72:73], v[72:73], v[100:101], v[76:77]
	v_pk_mul_f32 v[76:77], v[62:63], v[98:99] op_sel_hi:[0,1]
	v_lshl_add_u64 v[90:91], v[48:49], 3, v[36:37]
	v_add_u32_e32 v92, 0x152, v48
	v_mov_b32_e32 v93, v49
	v_pk_fma_f32 v[78:79], v[26:27], v[98:99], v[76:77] op_sel:[0,0,1] op_sel_hi:[1,1,0]
	v_pk_fma_f32 v[76:77], v[26:27], v[98:99], v[76:77] op_sel:[0,0,1] op_sel_hi:[0,1,0] neg_lo:[1,0,0] neg_hi:[1,0,0]
	v_lshl_add_u64 v[92:93], v[92:93], 3, v[36:37]
	v_add_u32_e32 v102, 0x2a4, v48
	v_mov_b32_e32 v103, v49
	v_add_u32_e32 v48, 0x3f6, v48
	global_store_dwordx2 v[90:91], v[34:35], off
	v_pk_fma_f32 v[34:35], v[44:45], 2.0, v[42:43] op_sel_hi:[1,0,1] neg_lo:[0,0,1] neg_hi:[0,0,1]
	v_mov_b32_e32 v79, v77
	v_mov_b32_e32 v76, v77
	;; [unrolled: 1-line block ×3, first 2 shown]
	v_lshl_add_u64 v[102:103], v[102:103], 3, v[36:37]
	v_lshl_add_u64 v[110:111], v[48:49], 3, v[36:37]
	global_store_dwordx2 v[92:93], v[34:35], off
	global_store_dwordx2 v[102:103], v[32:33], off
	;; [unrolled: 1-line block ×3, first 2 shown]
	v_add_u32_e32 v32, 0x68, v88
	v_pk_add_f32 v[76:77], v[76:77], v[80:81] neg_lo:[0,1] neg_hi:[0,1]
	v_mov_b32_e32 v80, v78
	v_mov_b32_e32 v81, v24
	v_mul_hi_u32 v33, v32, s1
	v_pk_add_f32 v[72:73], v[80:81], v[72:73] neg_lo:[0,1] neg_hi:[0,1]
	v_lshrrev_b32_e32 v33, 7, v33
	v_pk_add_f32 v[80:81], v[76:77], v[72:73] op_sel:[0,1] op_sel_hi:[1,0]
	v_pk_add_f32 v[90:91], v[76:77], v[72:73] op_sel:[0,1] op_sel_hi:[1,0] neg_lo:[0,1] neg_hi:[0,1]
	v_mul_u32_u24_e32 v34, 0x152, v33
	v_mov_b32_e32 v81, v91
	v_mov_b32_e32 v90, v73
	;; [unrolled: 1-line block ×4, first 2 shown]
	v_add_u32_e32 v24, 0x9c, v88
	v_sub_u32_e32 v32, v32, v34
	v_pk_fma_f32 v[92:93], v[106:107], 2.0, v[90:91] op_sel_hi:[1,0,1] neg_lo:[0,0,1] neg_hi:[0,0,1]
	v_pk_fma_f32 v[72:73], v[78:79], 2.0, v[72:73] op_sel_hi:[1,0,1] neg_lo:[0,0,1] neg_hi:[0,0,1]
	v_mul_hi_u32 v26, v24, s1
	v_mad_u32_u24 v48, v33, s2, v32
	v_pk_add_f32 v[72:73], v[92:93], v[72:73] neg_lo:[0,1] neg_hi:[0,1]
	v_lshrrev_b32_e32 v26, 7, v26
	v_lshl_add_u64 v[32:33], v[48:49], 3, v[36:37]
	v_add_u32_e32 v34, 0x152, v48
	v_mov_b32_e32 v35, v49
	v_pk_fma_f32 v[76:77], v[92:93], 2.0, v[72:73] op_sel_hi:[1,0,1] neg_lo:[0,0,1] neg_hi:[0,0,1]
	v_mul_u32_u24_e32 v28, 0x152, v26
	v_mov_b32_e32 v120, v11
	v_lshl_add_u64 v[34:35], v[34:35], 3, v[36:37]
	v_add_u32_e32 v42, 0x2a4, v48
	v_mov_b32_e32 v43, v49
	v_add_u32_e32 v48, 0x3f6, v48
	global_store_dwordx2 v[32:33], v[76:77], off
	v_pk_fma_f32 v[32:33], v[90:91], 2.0, v[80:81] op_sel_hi:[1,0,1] neg_lo:[0,0,1] neg_hi:[0,0,1]
	v_sub_u32_e32 v24, v24, v28
	v_mov_b32_e32 v77, v11
	v_mov_b32_e32 v64, v31
	;; [unrolled: 1-line block ×4, first 2 shown]
	v_lshl_add_u64 v[42:43], v[42:43], 3, v[36:37]
	v_lshl_add_u64 v[44:45], v[48:49], 3, v[36:37]
	global_store_dwordx2 v[34:35], v[32:33], off
	global_store_dwordx2 v[42:43], v[72:73], off
	;; [unrolled: 1-line block ×3, first 2 shown]
	v_mad_u32_u24 v48, v26, s2, v24
	v_mov_b32_e32 v73, v10
	v_mov_b32_e32 v28, v67
	v_pk_mul_f32 v[10:11], v[64:65], v[10:11]
	v_mov_b32_e32 v24, v63
	v_mov_b32_e32 v30, v29
	;; [unrolled: 1-line block ×3, first 2 shown]
	v_pk_fma_f32 v[10:11], v[28:29], v[120:121], v[10:11]
	v_pk_mul_f32 v[28:29], v[24:25], v[8:9] op_sel_hi:[0,1]
	v_mov_b32_e32 v24, v27
	v_mov_b32_e32 v66, v65
	v_mov_b32_e32 v72, v84
	v_pk_mul_f32 v[76:77], v[30:31], v[76:77]
	v_pk_fma_f32 v[30:31], v[24:25], v[8:9], v[28:29] op_sel:[0,0,1] op_sel_hi:[1,1,0]
	v_pk_fma_f32 v[8:9], v[24:25], v[8:9], v[28:29] op_sel:[0,0,1] op_sel_hi:[0,1,0] neg_lo:[1,0,0] neg_hi:[1,0,0]
	v_pk_fma_f32 v[72:73], v[66:67], v[72:73], v[76:77] neg_lo:[0,0,1] neg_hi:[0,0,1]
	v_mov_b32_e32 v60, v9
	v_mov_b32_e32 v24, v25
	;; [unrolled: 1-line block ×4, first 2 shown]
	v_pk_add_f32 v[8:9], v[60:61], v[72:73] neg_lo:[0,1] neg_hi:[0,1]
	v_pk_add_f32 v[10:11], v[24:25], v[10:11] neg_lo:[0,1] neg_hi:[0,1]
	v_lshl_add_u64 v[32:33], v[48:49], 3, v[36:37]
	v_pk_add_f32 v[24:25], v[8:9], v[10:11]
	v_pk_add_f32 v[26:27], v[8:9], v[10:11] neg_lo:[0,1] neg_hi:[0,1]
	v_add_u32_e32 v34, 0x152, v48
	v_mov_b32_e32 v25, v27
	v_mov_b32_e32 v26, v10
	;; [unrolled: 1-line block ×5, first 2 shown]
	v_pk_fma_f32 v[28:29], v[82:83], 2.0, v[26:27] op_sel_hi:[1,0,1] neg_lo:[0,0,1] neg_hi:[0,0,1]
	v_pk_fma_f32 v[8:9], v[30:31], 2.0, v[10:11] op_sel_hi:[1,0,1] neg_lo:[0,0,1] neg_hi:[0,0,1]
	v_mov_b32_e32 v35, v49
	v_pk_add_f32 v[8:9], v[28:29], v[8:9] neg_lo:[0,1] neg_hi:[0,1]
	v_lshl_add_u64 v[34:35], v[34:35], 3, v[36:37]
	v_pk_fma_f32 v[10:11], v[28:29], 2.0, v[8:9] op_sel_hi:[1,0,1] neg_lo:[0,0,1] neg_hi:[0,0,1]
	v_add_u32_e32 v42, 0x2a4, v48
	v_mov_b32_e32 v43, v49
	v_add_u32_e32 v48, 0x3f6, v48
	global_store_dwordx2 v[32:33], v[10:11], off
	v_pk_fma_f32 v[10:11], v[26:27], 2.0, v[24:25] op_sel_hi:[1,0,1] neg_lo:[0,0,1] neg_hi:[0,0,1]
	v_lshl_add_u64 v[42:43], v[42:43], 3, v[36:37]
	v_lshl_add_u64 v[44:45], v[48:49], 3, v[36:37]
	global_store_dwordx2 v[34:35], v[10:11], off
	global_store_dwordx2 v[42:43], v[8:9], off
	;; [unrolled: 1-line block ×3, first 2 shown]
	v_mov_b32_e32 v32, v20
	v_mov_b32_e32 v33, v22
	;; [unrolled: 1-line block ×4, first 2 shown]
	s_waitcnt lgkmcnt(0)
	v_mov_b32_e32 v28, v56
	v_mov_b32_e32 v29, v54
	;; [unrolled: 1-line block ×4, first 2 shown]
	v_pk_mul_f32 v[32:33], v[32:33], v[34:35]
	v_mov_b32_e32 v86, v7
	v_pk_fma_f32 v[28:29], v[28:29], v[30:31], v[32:33] neg_lo:[0,0,1] neg_hi:[0,0,1]
	v_mov_b32_e32 v30, v22
	v_mov_b32_e32 v31, v56
	;; [unrolled: 1-line block ×4, first 2 shown]
	v_pk_mul_f32 v[6:7], v[30:31], v[6:7]
	v_mov_b32_e32 v30, v54
	v_mov_b32_e32 v31, v20
	v_pk_fma_f32 v[6:7], v[30:31], v[86:87], v[6:7]
	v_pk_mul_f32 v[30:31], v[52:53], v[4:5] op_sel_hi:[0,1]
	v_pk_fma_f32 v[32:33], v[18:19], v[4:5], v[30:31] op_sel:[0,0,1] op_sel_hi:[1,1,0]
	v_pk_fma_f32 v[4:5], v[18:19], v[4:5], v[30:31] op_sel:[0,0,1] op_sel_hi:[0,1,0] neg_lo:[1,0,0] neg_hi:[1,0,0]
	v_mov_b32_e32 v33, v5
	v_mov_b32_e32 v4, v5
	;; [unrolled: 1-line block ×3, first 2 shown]
	v_add_u32_e32 v8, 0xd0, v88
	v_pk_add_f32 v[4:5], v[4:5], v[28:29] neg_lo:[0,1] neg_hi:[0,1]
	v_mov_b32_e32 v28, v16
	v_mov_b32_e32 v29, v32
	v_mul_hi_u32 v9, v8, s1
	v_pk_add_f32 v[6:7], v[28:29], v[6:7] neg_lo:[0,1] neg_hi:[0,1]
	v_lshrrev_b32_e32 v9, 7, v9
	v_pk_add_f32 v[28:29], v[4:5], v[6:7]
	v_pk_add_f32 v[30:31], v[4:5], v[6:7] neg_lo:[0,1] neg_hi:[0,1]
	v_mul_u32_u24_e32 v10, 0x152, v9
	v_mov_b32_e32 v29, v31
	v_mov_b32_e32 v30, v6
	;; [unrolled: 1-line block ×5, first 2 shown]
	v_sub_u32_e32 v8, v8, v10
	v_pk_fma_f32 v[34:35], v[68:69], 2.0, v[30:31] op_sel_hi:[1,0,1] neg_lo:[0,0,1] neg_hi:[0,0,1]
	v_pk_fma_f32 v[4:5], v[32:33], 2.0, v[6:7] op_sel_hi:[1,0,1] neg_lo:[0,0,1] neg_hi:[0,0,1]
	v_mad_u32_u24 v48, v9, s2, v8
	v_pk_add_f32 v[4:5], v[34:35], v[4:5] neg_lo:[0,1] neg_hi:[0,1]
	v_lshl_add_u64 v[8:9], v[48:49], 3, v[36:37]
	v_add_u32_e32 v10, 0x152, v48
	v_mov_b32_e32 v11, v49
	v_add_u32_e32 v24, 0x2a4, v48
	v_add_u32_e32 v48, 0x3f6, v48
	v_pk_fma_f32 v[6:7], v[34:35], 2.0, v[4:5] op_sel_hi:[1,0,1] neg_lo:[0,0,1] neg_hi:[0,0,1]
	v_lshl_add_u64 v[10:11], v[10:11], 3, v[36:37]
	v_mov_b32_e32 v25, v49
	v_lshl_add_u64 v[26:27], v[48:49], 3, v[36:37]
	global_store_dwordx2 v[8:9], v[6:7], off
	v_pk_fma_f32 v[6:7], v[30:31], 2.0, v[28:29] op_sel_hi:[1,0,1] neg_lo:[0,0,1] neg_hi:[0,0,1]
	v_lshl_add_u64 v[24:25], v[24:25], 3, v[36:37]
	global_store_dwordx2 v[10:11], v[6:7], off
	global_store_dwordx2 v[24:25], v[4:5], off
	;; [unrolled: 1-line block ×3, first 2 shown]
	v_mov_b32_e32 v27, v3
	v_mov_b32_e32 v56, v23
	;; [unrolled: 1-line block ×4, first 2 shown]
	v_pk_mul_f32 v[2:3], v[56:57], v[2:3]
	v_mov_b32_e32 v20, v55
	v_mov_b32_e32 v16, v53
	v_mov_b32_e32 v22, v21
	v_mov_b32_e32 v26, v59
	v_pk_fma_f32 v[2:3], v[20:21], v[74:75], v[2:3]
	v_pk_mul_f32 v[20:21], v[16:17], v[0:1] op_sel_hi:[0,1]
	v_mov_b32_e32 v16, v19
	v_mov_b32_e32 v54, v57
	;; [unrolled: 1-line block ×3, first 2 shown]
	v_pk_mul_f32 v[26:27], v[22:23], v[26:27]
	v_pk_fma_f32 v[22:23], v[16:17], v[0:1], v[20:21] op_sel:[0,0,1] op_sel_hi:[1,1,0]
	v_pk_fma_f32 v[0:1], v[16:17], v[0:1], v[20:21] op_sel:[0,0,1] op_sel_hi:[0,1,0] neg_lo:[1,0,0] neg_hi:[1,0,0]
	v_add_u32_e32 v4, 0x104, v88
	v_pk_fma_f32 v[24:25], v[54:55], v[24:25], v[26:27] neg_lo:[0,0,1] neg_hi:[0,0,1]
	v_mov_b32_e32 v50, v1
	v_mov_b32_e32 v16, v17
	;; [unrolled: 1-line block ×3, first 2 shown]
	v_mul_hi_u32 v5, v4, s1
	v_mov_b32_e32 v23, v1
	v_pk_add_f32 v[0:1], v[50:51], v[24:25] neg_lo:[0,1] neg_hi:[0,1]
	v_pk_add_f32 v[2:3], v[16:17], v[2:3] neg_lo:[0,1] neg_hi:[0,1]
	v_lshrrev_b32_e32 v5, 7, v5
	v_pk_add_f32 v[16:17], v[0:1], v[2:3]
	v_pk_add_f32 v[18:19], v[0:1], v[2:3] neg_lo:[0,1] neg_hi:[0,1]
	v_mul_u32_u24_e32 v6, 0x152, v5
	v_mov_b32_e32 v17, v19
	v_mov_b32_e32 v18, v2
	;; [unrolled: 1-line block ×5, first 2 shown]
	v_sub_u32_e32 v4, v4, v6
	v_pk_fma_f32 v[20:21], v[38:39], 2.0, v[18:19] op_sel_hi:[1,0,1] neg_lo:[0,0,1] neg_hi:[0,0,1]
	v_pk_fma_f32 v[0:1], v[22:23], 2.0, v[2:3] op_sel_hi:[1,0,1] neg_lo:[0,0,1] neg_hi:[0,0,1]
	v_mad_u32_u24 v48, v5, s2, v4
	v_pk_add_f32 v[0:1], v[20:21], v[0:1] neg_lo:[0,1] neg_hi:[0,1]
	v_lshl_add_u64 v[4:5], v[48:49], 3, v[36:37]
	v_add_u32_e32 v6, 0x152, v48
	v_mov_b32_e32 v7, v49
	v_pk_fma_f32 v[2:3], v[20:21], 2.0, v[0:1] op_sel_hi:[1,0,1] neg_lo:[0,0,1] neg_hi:[0,0,1]
	v_lshl_add_u64 v[6:7], v[6:7], 3, v[36:37]
	v_add_u32_e32 v8, 0x2a4, v48
	v_mov_b32_e32 v9, v49
	v_add_u32_e32 v48, 0x3f6, v48
	global_store_dwordx2 v[4:5], v[2:3], off
	v_pk_fma_f32 v[2:3], v[18:19], 2.0, v[16:17] op_sel_hi:[1,0,1] neg_lo:[0,0,1] neg_hi:[0,0,1]
	v_lshl_add_u64 v[8:9], v[8:9], 3, v[36:37]
	v_lshl_add_u64 v[10:11], v[48:49], 3, v[36:37]
	global_store_dwordx2 v[6:7], v[2:3], off
	global_store_dwordx2 v[8:9], v[0:1], off
	;; [unrolled: 1-line block ×3, first 2 shown]
	v_add_u32_e32 v0, 0x138, v88
	v_cmp_gt_u32_e32 vcc, s0, v0
	s_and_b64 exec, exec, vcc
	s_cbranch_execz .LBB0_18
; %bb.22:
	v_mul_i32_i24_e32 v48, 3, v89
	v_lshl_add_u64 v[6:7], v[48:49], 3, s[4:5]
	global_load_dwordx4 v[2:5], v[6:7], off offset:2688
	global_load_dwordx2 v[8:9], v[6:7], off offset:2704
	v_mov_b32_e32 v16, v15
	v_mov_b32_e32 v17, v46
	;; [unrolled: 1-line block ×7, first 2 shown]
	v_add_u32_e32 v48, 0x28a, v88
	v_lshl_add_u64 v[20:21], v[48:49], 3, v[36:37]
	v_add_u32_e32 v48, 0x3dc, v88
	v_mov_b32_e32 v1, v49
	v_lshl_add_u64 v[22:23], v[48:49], 3, v[36:37]
	v_add_u32_e32 v48, 0x52e, v88
	v_lshl_add_u64 v[0:1], v[0:1], 3, v[36:37]
	v_lshl_add_u64 v[24:25], v[48:49], 3, v[36:37]
	s_waitcnt vmcnt(1)
	v_mov_b32_e32 v28, v4
	s_waitcnt vmcnt(0)
	v_mov_b32_e32 v27, v8
	v_mov_b32_e32 v29, v9
	;; [unrolled: 1-line block ×5, first 2 shown]
	v_pk_mul_f32 v[8:9], v[40:41], v[2:3] op_sel_hi:[0,1]
	v_mov_b32_e32 v26, v5
	v_pk_mul_f32 v[16:17], v[16:17], v[28:29]
	v_pk_mul_f32 v[4:5], v[14:15], v[4:5]
	v_pk_fma_f32 v[14:15], v[12:13], v[2:3], v[8:9] op_sel:[0,0,1] op_sel_hi:[1,1,0]
	v_pk_fma_f32 v[2:3], v[12:13], v[2:3], v[8:9] op_sel:[0,0,1] op_sel_hi:[0,1,0] neg_lo:[1,0,0] neg_hi:[1,0,0]
	v_pk_fma_f32 v[8:9], v[10:11], v[26:27], v[16:17]
	v_pk_fma_f32 v[4:5], v[46:47], v[30:31], v[4:5] neg_lo:[0,0,1] neg_hi:[0,0,1]
	v_mov_b32_e32 v19, v14
	v_mov_b32_e32 v40, v3
	;; [unrolled: 1-line block ×3, first 2 shown]
	v_pk_add_f32 v[2:3], v[18:19], v[8:9] neg_lo:[0,1] neg_hi:[0,1]
	v_pk_add_f32 v[4:5], v[40:41], v[4:5] neg_lo:[0,1] neg_hi:[0,1]
	v_mov_b32_e32 v8, v2
	v_mov_b32_e32 v9, v5
	;; [unrolled: 1-line block ×4, first 2 shown]
	v_pk_add_f32 v[12:13], v[4:5], v[2:3]
	v_pk_add_f32 v[2:3], v[4:5], v[2:3] neg_lo:[0,1] neg_hi:[0,1]
	v_pk_fma_f32 v[4:5], v[6:7], 2.0, v[8:9] op_sel_hi:[1,0,1] neg_lo:[0,0,1] neg_hi:[0,0,1]
	v_pk_fma_f32 v[6:7], v[14:15], 2.0, v[10:11] op_sel_hi:[1,0,1] neg_lo:[0,0,1] neg_hi:[0,0,1]
	v_mov_b32_e32 v13, v3
	v_pk_add_f32 v[2:3], v[4:5], v[6:7] neg_lo:[0,1] neg_hi:[0,1]
	v_pk_fma_f32 v[6:7], v[8:9], 2.0, v[12:13] op_sel_hi:[1,0,1] neg_lo:[0,0,1] neg_hi:[0,0,1]
	v_pk_fma_f32 v[4:5], v[4:5], 2.0, v[2:3] op_sel_hi:[1,0,1] neg_lo:[0,0,1] neg_hi:[0,0,1]
	global_store_dwordx2 v[20:21], v[6:7], off
	global_store_dwordx2 v[22:23], v[2:3], off
	;; [unrolled: 1-line block ×4, first 2 shown]
	s_endpgm
	.section	.rodata,"a",@progbits
	.p2align	6, 0x0
	.amdhsa_kernel fft_rtc_back_len1352_factors_2_13_13_4_wgs_52_tpt_52_halfLds_sp_op_CI_CI_unitstride_sbrr_dirReg
		.amdhsa_group_segment_fixed_size 0
		.amdhsa_private_segment_fixed_size 0
		.amdhsa_kernarg_size 104
		.amdhsa_user_sgpr_count 2
		.amdhsa_user_sgpr_dispatch_ptr 0
		.amdhsa_user_sgpr_queue_ptr 0
		.amdhsa_user_sgpr_kernarg_segment_ptr 1
		.amdhsa_user_sgpr_dispatch_id 0
		.amdhsa_user_sgpr_kernarg_preload_length 0
		.amdhsa_user_sgpr_kernarg_preload_offset 0
		.amdhsa_user_sgpr_private_segment_size 0
		.amdhsa_uses_dynamic_stack 0
		.amdhsa_enable_private_segment 0
		.amdhsa_system_sgpr_workgroup_id_x 1
		.amdhsa_system_sgpr_workgroup_id_y 0
		.amdhsa_system_sgpr_workgroup_id_z 0
		.amdhsa_system_sgpr_workgroup_info 0
		.amdhsa_system_vgpr_workitem_id 0
		.amdhsa_next_free_vgpr 136
		.amdhsa_next_free_sgpr 28
		.amdhsa_accum_offset 136
		.amdhsa_reserve_vcc 1
		.amdhsa_float_round_mode_32 0
		.amdhsa_float_round_mode_16_64 0
		.amdhsa_float_denorm_mode_32 3
		.amdhsa_float_denorm_mode_16_64 3
		.amdhsa_dx10_clamp 1
		.amdhsa_ieee_mode 1
		.amdhsa_fp16_overflow 0
		.amdhsa_tg_split 0
		.amdhsa_exception_fp_ieee_invalid_op 0
		.amdhsa_exception_fp_denorm_src 0
		.amdhsa_exception_fp_ieee_div_zero 0
		.amdhsa_exception_fp_ieee_overflow 0
		.amdhsa_exception_fp_ieee_underflow 0
		.amdhsa_exception_fp_ieee_inexact 0
		.amdhsa_exception_int_div_zero 0
	.end_amdhsa_kernel
	.text
.Lfunc_end0:
	.size	fft_rtc_back_len1352_factors_2_13_13_4_wgs_52_tpt_52_halfLds_sp_op_CI_CI_unitstride_sbrr_dirReg, .Lfunc_end0-fft_rtc_back_len1352_factors_2_13_13_4_wgs_52_tpt_52_halfLds_sp_op_CI_CI_unitstride_sbrr_dirReg
                                        ; -- End function
	.section	.AMDGPU.csdata,"",@progbits
; Kernel info:
; codeLenInByte = 17688
; NumSgprs: 34
; NumVgprs: 136
; NumAgprs: 0
; TotalNumVgprs: 136
; ScratchSize: 0
; MemoryBound: 0
; FloatMode: 240
; IeeeMode: 1
; LDSByteSize: 0 bytes/workgroup (compile time only)
; SGPRBlocks: 4
; VGPRBlocks: 16
; NumSGPRsForWavesPerEU: 34
; NumVGPRsForWavesPerEU: 136
; AccumOffset: 136
; Occupancy: 3
; WaveLimiterHint : 1
; COMPUTE_PGM_RSRC2:SCRATCH_EN: 0
; COMPUTE_PGM_RSRC2:USER_SGPR: 2
; COMPUTE_PGM_RSRC2:TRAP_HANDLER: 0
; COMPUTE_PGM_RSRC2:TGID_X_EN: 1
; COMPUTE_PGM_RSRC2:TGID_Y_EN: 0
; COMPUTE_PGM_RSRC2:TGID_Z_EN: 0
; COMPUTE_PGM_RSRC2:TIDIG_COMP_CNT: 0
; COMPUTE_PGM_RSRC3_GFX90A:ACCUM_OFFSET: 33
; COMPUTE_PGM_RSRC3_GFX90A:TG_SPLIT: 0
	.text
	.p2alignl 6, 3212836864
	.fill 256, 4, 3212836864
	.type	__hip_cuid_323092e9eb0d8b82,@object ; @__hip_cuid_323092e9eb0d8b82
	.section	.bss,"aw",@nobits
	.globl	__hip_cuid_323092e9eb0d8b82
__hip_cuid_323092e9eb0d8b82:
	.byte	0                               ; 0x0
	.size	__hip_cuid_323092e9eb0d8b82, 1

	.ident	"AMD clang version 19.0.0git (https://github.com/RadeonOpenCompute/llvm-project roc-6.4.0 25133 c7fe45cf4b819c5991fe208aaa96edf142730f1d)"
	.section	".note.GNU-stack","",@progbits
	.addrsig
	.addrsig_sym __hip_cuid_323092e9eb0d8b82
	.amdgpu_metadata
---
amdhsa.kernels:
  - .agpr_count:     0
    .args:
      - .actual_access:  read_only
        .address_space:  global
        .offset:         0
        .size:           8
        .value_kind:     global_buffer
      - .offset:         8
        .size:           8
        .value_kind:     by_value
      - .actual_access:  read_only
        .address_space:  global
        .offset:         16
        .size:           8
        .value_kind:     global_buffer
      - .actual_access:  read_only
        .address_space:  global
        .offset:         24
        .size:           8
        .value_kind:     global_buffer
      - .actual_access:  read_only
        .address_space:  global
        .offset:         32
        .size:           8
        .value_kind:     global_buffer
      - .offset:         40
        .size:           8
        .value_kind:     by_value
      - .actual_access:  read_only
        .address_space:  global
        .offset:         48
        .size:           8
        .value_kind:     global_buffer
      - .actual_access:  read_only
        .address_space:  global
        .offset:         56
        .size:           8
        .value_kind:     global_buffer
      - .offset:         64
        .size:           4
        .value_kind:     by_value
      - .actual_access:  read_only
        .address_space:  global
        .offset:         72
        .size:           8
        .value_kind:     global_buffer
      - .actual_access:  read_only
        .address_space:  global
        .offset:         80
        .size:           8
        .value_kind:     global_buffer
      - .actual_access:  read_only
        .address_space:  global
        .offset:         88
        .size:           8
        .value_kind:     global_buffer
      - .actual_access:  write_only
        .address_space:  global
        .offset:         96
        .size:           8
        .value_kind:     global_buffer
    .group_segment_fixed_size: 0
    .kernarg_segment_align: 8
    .kernarg_segment_size: 104
    .language:       OpenCL C
    .language_version:
      - 2
      - 0
    .max_flat_workgroup_size: 52
    .name:           fft_rtc_back_len1352_factors_2_13_13_4_wgs_52_tpt_52_halfLds_sp_op_CI_CI_unitstride_sbrr_dirReg
    .private_segment_fixed_size: 0
    .sgpr_count:     34
    .sgpr_spill_count: 0
    .symbol:         fft_rtc_back_len1352_factors_2_13_13_4_wgs_52_tpt_52_halfLds_sp_op_CI_CI_unitstride_sbrr_dirReg.kd
    .uniform_work_group_size: 1
    .uses_dynamic_stack: false
    .vgpr_count:     136
    .vgpr_spill_count: 0
    .wavefront_size: 64
amdhsa.target:   amdgcn-amd-amdhsa--gfx950
amdhsa.version:
  - 1
  - 2
...

	.end_amdgpu_metadata
